;; amdgpu-corpus repo=ROCm/rocFFT kind=compiled arch=gfx950 opt=O3
	.text
	.amdgcn_target "amdgcn-amd-amdhsa--gfx950"
	.amdhsa_code_object_version 6
	.protected	bluestein_single_back_len204_dim1_sp_op_CI_CI ; -- Begin function bluestein_single_back_len204_dim1_sp_op_CI_CI
	.globl	bluestein_single_back_len204_dim1_sp_op_CI_CI
	.p2align	8
	.type	bluestein_single_back_len204_dim1_sp_op_CI_CI,@function
bluestein_single_back_len204_dim1_sp_op_CI_CI: ; @bluestein_single_back_len204_dim1_sp_op_CI_CI
; %bb.0:
	s_load_dwordx4 s[8:11], s[0:1], 0x28
	v_mul_u32_u24_e32 v1, 0xf10, v0
	v_lshrrev_b32_e32 v2, 16, v1
	v_mad_u64_u32 v[138:139], s[2:3], s2, 7, v[2:3]
	v_mov_b32_e32 v249, 0
	v_mov_b32_e32 v139, v249
	s_waitcnt lgkmcnt(0)
	v_cmp_gt_u64_e32 vcc, s[8:9], v[138:139]
	s_and_saveexec_b64 s[2:3], vcc
	s_cbranch_execz .LBB0_15
; %bb.1:
	v_mul_lo_u16_e32 v1, 17, v2
	s_mov_b32 s4, 0x24924925
	v_sub_u16_e32 v248, v0, v1
	v_mul_hi_u32 v0, v138, s4
	v_sub_u32_e32 v1, v138, v0
	v_lshrrev_b32_e32 v1, 1, v1
	v_add_u32_e32 v0, v1, v0
	s_load_dwordx2 s[2:3], s[0:1], 0x0
	s_load_dwordx2 s[8:9], s[0:1], 0x38
	v_lshrrev_b32_e32 v0, 2, v0
	v_mul_lo_u32 v0, v0, 7
	v_sub_u32_e32 v0, v138, v0
	v_mul_u32_u24_e32 v250, 0xcc, v0
	v_or_b32_e32 v0, 48, v248
	v_cmp_gt_u16_e32 vcc, 12, v248
	v_lshlrev_b32_e32 v56, 3, v248
	v_lshlrev_b32_e32 v139, 3, v250
	v_accvgpr_write_b32 a0, v0
	s_and_saveexec_b64 s[12:13], vcc
	s_cbranch_execz .LBB0_3
; %bb.2:
	s_load_dwordx2 s[4:5], s[0:1], 0x18
	v_mov_b32_e32 v0, s10
	v_mov_b32_e32 v1, s11
	;; [unrolled: 1-line block ×3, first 2 shown]
	v_accvgpr_read_b32 v31, a0
	s_waitcnt lgkmcnt(0)
	s_load_dwordx4 s[4:7], s[4:5], 0x0
	v_or_b32_e32 v33, 0x60, v248
	v_or_b32_e32 v35, 0x90, v248
	v_mov_b32_e32 v54, 0xc0
	s_waitcnt lgkmcnt(0)
	v_mad_u64_u32 v[2:3], s[10:11], s6, v138, 0
	v_mad_u64_u32 v[4:5], s[10:11], s4, v248, 0
	v_mov_b32_e32 v6, v3
	v_mov_b32_e32 v8, v5
	v_mad_u64_u32 v[6:7], s[6:7], s7, v138, v[6:7]
	v_mov_b32_e32 v3, v6
	v_mad_u64_u32 v[6:7], s[6:7], s5, v248, v[8:9]
	v_mov_b32_e32 v5, v6
	v_lshl_add_u64 v[2:3], v[2:3], 3, v[0:1]
	v_lshl_add_u64 v[4:5], v[4:5], 3, v[2:3]
	v_mad_u64_u32 v[16:17], s[6:7], s4, v57, v[4:5]
	s_mul_i32 s6, s5, 0x60
	s_nop 0
	v_add_u32_e32 v17, s6, v17
	v_mad_u64_u32 v[24:25], s[10:11], s4, v31, 0
	v_mad_u64_u32 v[18:19], s[10:11], s4, v57, v[16:17]
	v_mov_b32_e32 v30, v25
	v_add_u32_e32 v19, s6, v19
	v_mad_u64_u32 v[26:27], s[10:11], s4, v33, 0
	v_mad_u64_u32 v[30:31], s[10:11], s5, v31, v[30:31]
	global_load_dwordx2 v[0:1], v[4:5], off
	global_load_dwordx2 v[8:9], v56, s[2:3]
	s_nop 0
	global_load_dwordx2 v[4:5], v56, s[2:3] offset:96
	global_load_dwordx2 v[6:7], v56, s[2:3] offset:192
	;; [unrolled: 1-line block ×7, first 2 shown]
	v_mad_u64_u32 v[28:29], s[10:11], s4, v35, 0
	v_mov_b32_e32 v32, v27
	global_load_dwordx2 v[16:17], v[16:17], off
	v_mov_b32_e32 v25, v30
	global_load_dwordx2 v[30:31], v[18:19], off
	v_mad_u64_u32 v[18:19], s[10:11], s4, v57, v[18:19]
	v_mov_b32_e32 v34, v29
	v_mad_u64_u32 v[32:33], s[10:11], s5, v33, v[32:33]
	v_add_u32_e32 v19, s6, v19
	s_mul_i32 s7, s5, 0xc0
	v_mad_u64_u32 v[34:35], s[10:11], s5, v35, v[34:35]
	v_mov_b32_e32 v27, v32
	global_load_dwordx2 v[32:33], v[18:19], off
	v_mad_u64_u32 v[18:19], s[10:11], s4, v54, v[18:19]
	v_mov_b32_e32 v29, v34
	v_lshl_add_u64 v[24:25], v[24:25], 3, v[2:3]
	v_add_u32_e32 v19, s7, v19
	v_lshl_add_u64 v[26:27], v[26:27], 3, v[2:3]
	v_lshl_add_u64 v[28:29], v[28:29], 3, v[2:3]
	global_load_dwordx2 v[34:35], v[24:25], off
	global_load_dwordx2 v[36:37], v[26:27], off
	;; [unrolled: 1-line block ×3, first 2 shown]
	s_nop 0
	global_load_dwordx2 v[24:25], v[18:19], off
	v_mad_u64_u32 v[18:19], s[10:11], s4, v57, v[18:19]
	v_add_u32_e32 v19, s6, v19
	global_load_dwordx2 v[26:27], v[18:19], off
	v_mad_u64_u32 v[18:19], s[10:11], s4, v57, v[18:19]
	v_add_u32_e32 v19, s6, v19
	;; [unrolled: 3-line block ×3, first 2 shown]
	global_load_dwordx2 v[40:41], v[18:19], off
	global_load_dwordx2 v[42:43], v56, s[2:3] offset:768
	v_mad_u64_u32 v[18:19], s[10:11], s4, v57, v[18:19]
	v_add_u32_e32 v19, s6, v19
	global_load_dwordx2 v[44:45], v[18:19], off
	global_load_dwordx2 v[46:47], v56, s[2:3] offset:864
	v_mad_u64_u32 v[18:19], s[10:11], s4, v57, v[18:19]
	v_add_u32_e32 v19, s6, v19
	global_load_dwordx2 v[48:49], v[18:19], off
	global_load_dwordx2 v[50:51], v56, s[2:3] offset:960
	global_load_dwordx2 v[52:53], v56, s[2:3] offset:1056
	v_mad_u64_u32 v[18:19], s[10:11], s4, v54, v[18:19]
	v_add_u32_e32 v19, s7, v19
	global_load_dwordx2 v[54:55], v[18:19], off
	v_mad_u64_u32 v[18:19], s[10:11], s4, v57, v[18:19]
	v_add_u32_e32 v19, s6, v19
	global_load_dwordx2 v[60:61], v56, s[2:3] offset:1152
	global_load_dwordx2 v[62:63], v[18:19], off
	v_mad_u64_u32 v[18:19], s[10:11], s4, v57, v[18:19]
	v_or_b32_e32 v57, 0xc0, v248
	v_add_u32_e32 v19, s6, v19
	v_mad_u64_u32 v[68:69], s[6:7], s4, v57, 0
	v_mov_b32_e32 v70, v69
	v_mad_u64_u32 v[70:71], s[4:5], s5, v57, v[70:71]
	global_load_dwordx2 v[64:65], v56, s[2:3] offset:1248
	global_load_dwordx2 v[66:67], v[18:19], off
	v_mov_b32_e32 v69, v70
	global_load_dwordx2 v[18:19], v56, s[2:3] offset:1344
	global_load_dwordx2 v[72:73], v56, s[2:3] offset:1440
	v_lshl_add_u64 v[2:3], v[68:69], 3, v[2:3]
	global_load_dwordx2 v[68:69], v[2:3], off
	global_load_dwordx2 v[70:71], v56, s[2:3] offset:1536
	v_lshl_add_u32 v57, v248, 3, v139
	s_waitcnt vmcnt(32)
	v_mul_f32_e32 v2, v1, v9
	v_mul_f32_e32 v3, v0, v9
	v_fmac_f32_e32 v2, v0, v8
	v_fma_f32 v3, v1, v8, -v3
	ds_write_b64 v57, v[2:3]
	s_waitcnt vmcnt(24)
	v_mul_f32_e32 v0, v17, v5
	v_mul_f32_e32 v1, v16, v5
	s_waitcnt vmcnt(23)
	v_mul_f32_e32 v2, v31, v7
	v_mul_f32_e32 v3, v30, v7
	v_fmac_f32_e32 v0, v16, v4
	v_fma_f32 v1, v17, v4, -v1
	v_fmac_f32_e32 v2, v30, v6
	v_fma_f32 v3, v31, v6, -v3
	v_add_u32_e32 v4, v139, v56
	ds_write2_b64 v4, v[0:1], v[2:3] offset0:12 offset1:24
	s_waitcnt vmcnt(22)
	v_mul_f32_e32 v0, v33, v11
	v_mul_f32_e32 v1, v32, v11
	v_fmac_f32_e32 v0, v32, v10
	v_fma_f32 v1, v33, v10, -v1
	s_waitcnt vmcnt(21)
	v_mul_f32_e32 v2, v35, v13
	v_mul_f32_e32 v3, v34, v13
	v_fmac_f32_e32 v2, v34, v12
	v_fma_f32 v3, v35, v12, -v3
	ds_write2_b64 v4, v[0:1], v[2:3] offset0:36 offset1:48
	s_waitcnt vmcnt(18)
	v_mul_f32_e32 v0, v25, v15
	v_mul_f32_e32 v1, v24, v15
	v_fmac_f32_e32 v0, v24, v14
	s_waitcnt vmcnt(17)
	v_mul_f32_e32 v2, v27, v21
	v_mul_f32_e32 v3, v26, v21
	v_fma_f32 v1, v25, v14, -v1
	v_fmac_f32_e32 v2, v26, v20
	v_fma_f32 v3, v27, v20, -v3
	ds_write2_b64 v4, v[0:1], v[2:3] offset0:60 offset1:72
	s_waitcnt vmcnt(16)
	v_mul_f32_e32 v0, v29, v23
	v_mul_f32_e32 v1, v28, v23
	s_waitcnt vmcnt(14)
	v_mul_f32_e32 v2, v37, v43
	v_mul_f32_e32 v3, v36, v43
	v_fmac_f32_e32 v0, v28, v22
	v_fma_f32 v1, v29, v22, -v1
	v_fmac_f32_e32 v2, v36, v42
	v_fma_f32 v3, v37, v42, -v3
	ds_write2_b64 v4, v[0:1], v[2:3] offset0:84 offset1:96
	s_waitcnt vmcnt(12)
	v_mul_f32_e32 v0, v41, v47
	v_mul_f32_e32 v1, v40, v47
	s_waitcnt vmcnt(10)
	v_mul_f32_e32 v2, v45, v51
	v_mul_f32_e32 v3, v44, v51
	v_fmac_f32_e32 v0, v40, v46
	;; [unrolled: 11-line block ×3, first 2 shown]
	v_fma_f32 v1, v49, v52, -v1
	v_fmac_f32_e32 v2, v38, v60
	v_fma_f32 v3, v39, v60, -v3
	ds_write2_b64 v4, v[0:1], v[2:3] offset0:132 offset1:144
	s_waitcnt vmcnt(5)
	v_mul_f32_e32 v0, v55, v65
	v_mul_f32_e32 v1, v54, v65
	v_fmac_f32_e32 v0, v54, v64
	s_waitcnt vmcnt(3)
	v_mul_f32_e32 v2, v63, v19
	v_mul_f32_e32 v3, v62, v19
	v_fma_f32 v1, v55, v64, -v1
	v_fmac_f32_e32 v2, v62, v18
	v_fma_f32 v3, v63, v18, -v3
	ds_write2_b64 v4, v[0:1], v[2:3] offset0:156 offset1:168
	s_waitcnt vmcnt(2)
	v_mul_f32_e32 v0, v67, v73
	v_mul_f32_e32 v1, v66, v73
	s_waitcnt vmcnt(0)
	v_mul_f32_e32 v2, v69, v71
	v_mul_f32_e32 v3, v68, v71
	v_fmac_f32_e32 v0, v66, v72
	v_fma_f32 v1, v67, v72, -v1
	v_fmac_f32_e32 v2, v68, v70
	v_fma_f32 v3, v69, v70, -v3
	ds_write2_b64 v4, v[0:1], v[2:3] offset0:180 offset1:192
.LBB0_3:
	s_or_b64 exec, exec, s[12:13]
	s_load_dwordx2 s[4:5], s[0:1], 0x20
	s_load_dwordx2 s[10:11], s[0:1], 0x8
	v_mov_b32_e32 v0, 0
	v_mov_b32_e32 v1, 0
	s_waitcnt lgkmcnt(0)
	s_barrier
	s_waitcnt lgkmcnt(0)
                                        ; implicit-def: $vgpr6
                                        ; implicit-def: $vgpr16
                                        ; implicit-def: $vgpr14
                                        ; implicit-def: $vgpr24
                                        ; implicit-def: $vgpr22
                                        ; implicit-def: $vgpr44
                                        ; implicit-def: $vgpr38
                                        ; implicit-def: $vgpr34
	s_and_saveexec_b64 s[0:1], vcc
	s_cbranch_execz .LBB0_5
; %bb.4:
	v_lshlrev_b32_e32 v0, 3, v248
	v_lshl_add_u32 v8, v250, 3, v0
	ds_read2_b64 v[0:3], v8 offset1:12
	ds_read2_b64 v[32:35], v8 offset0:24 offset1:36
	ds_read2_b64 v[20:23], v8 offset0:48 offset1:60
	;; [unrolled: 1-line block ×7, first 2 shown]
	ds_read_b64 v[44:45], v8 offset:1536
.LBB0_5:
	s_or_b64 exec, exec, s[0:1]
	s_mov_b32 s12, 0xbf2c7751
	s_waitcnt lgkmcnt(0)
	v_pk_add_f32 v[62:63], v[44:45], v[2:3]
	v_pk_add_f32 v[8:9], v[2:3], v[44:45] neg_lo:[0,1] neg_hi:[0,1]
	s_mov_b32 s13, 0x3f3d2fb0
	s_mov_b32 s6, 0xbf7ee86f
	;; [unrolled: 1-line block ×3, first 2 shown]
	v_mov_b32_e32 v41, v63
	v_mov_b32_e32 v63, v8
	v_pk_add_f32 v[64:65], v[38:39], v[32:33]
	v_pk_add_f32 v[76:77], v[32:33], v[38:39] neg_lo:[0,1] neg_hi:[0,1]
	s_mov_b32 s0, s13
	s_mov_b32 s1, s12
	;; [unrolled: 1-line block ×4, first 2 shown]
	v_mov_b32_e32 v40, v9
	v_pk_mul_f32 v[68:69], v[62:63], s[0:1]
	v_mov_b32_e32 v78, v64
	v_mov_b32_e32 v79, v76
	s_mov_b32 s38, s7
	s_mov_b32 s39, s6
	;; [unrolled: 1-line block ×4, first 2 shown]
	v_pk_fma_f32 v[66:67], v[40:41], s[12:13], v[68:69]
	v_pk_fma_f32 v[8:9], v[40:41], s[12:13], v[68:69] neg_lo:[0,0,1] neg_hi:[0,0,1]
	v_mov_b32_e32 v42, v77
	v_mov_b32_e32 v43, v65
	v_pk_mul_f32 v[74:75], v[78:79], s[38:39]
	v_pk_mul_f32 v[80:81], v[62:63], s[0:1]
	s_mov_b32 s0, 0xbf4c4adb
	v_pk_fma_f32 v[58:59], v[42:43], s[6:7], v[74:75]
	v_pk_fma_f32 v[10:11], v[42:43], s[6:7], v[74:75] neg_lo:[0,0,1] neg_hi:[0,0,1]
	s_mov_b32 s1, 0xbf1a4643
	v_mov_b32_e32 v8, v66
	s_mov_b32 s34, s1
	s_mov_b32 s35, s0
	v_pk_add_f32 v[8:9], v[8:9], v[0:1]
	v_mov_b32_e32 v10, v58
	v_pk_mul_f32 v[84:85], v[78:79], s[34:35]
	v_pk_fma_f32 v[92:93], v[40:41], s[16:17], v[80:81]
	v_pk_add_f32 v[8:9], v[10:11], v[8:9]
	v_pk_fma_f32 v[10:11], v[40:41], s[16:17], v[80:81] neg_lo:[0,0,1] neg_hi:[0,0,1]
	v_pk_fma_f32 v[82:83], v[42:43], s[0:1], v[84:85]
	v_pk_fma_f32 v[28:29], v[42:43], s[0:1], v[84:85] neg_lo:[0,0,1] neg_hi:[0,0,1]
	v_mov_b32_e32 v10, v92
	v_pk_add_f32 v[10:11], v[10:11], v[0:1]
	v_mov_b32_e32 v28, v82
	v_pk_add_f32 v[50:51], v[34:35], v[36:37] neg_lo:[0,1] neg_hi:[0,1]
	v_pk_add_f32 v[10:11], v[28:29], v[10:11]
	v_pk_add_f32 v[46:47], v[36:37], v[34:35]
	s_mov_b32 s46, s1
	v_pk_mul_f32 v[28:29], v[50:51], s[0:1] op_sel_hi:[1,0]
	s_mov_b32 s18, 0xbe3c28d5
	v_pk_fma_f32 v[88:89], v[46:47], s[46:47], v[28:29] op_sel:[0,0,1] op_sel_hi:[1,0,0]
	v_pk_fma_f32 v[90:91], v[46:47], s[46:47], v[28:29] op_sel:[0,0,1] op_sel_hi:[1,0,0] neg_lo:[0,0,1] neg_hi:[0,0,1]
	v_mov_b32_e32 v28, v88
	v_mov_b32_e32 v29, v91
	s_mov_b32 s19, 0xbf7ba420
	s_mov_b32 s14, 0x3e3c28d5
	v_pk_add_f32 v[8:9], v[28:29], v[8:9]
	s_mov_b32 s44, s19
	v_pk_mul_f32 v[28:29], v[50:51], s[14:15] op_sel_hi:[1,0]
	v_pk_add_f32 v[124:125], v[20:21], v[26:27] neg_lo:[0,1] neg_hi:[0,1]
	v_pk_fma_f32 v[110:111], v[46:47], s[44:45], v[28:29] op_sel:[0,0,1] op_sel_hi:[1,0,0]
	v_pk_fma_f32 v[86:87], v[46:47], s[44:45], v[28:29] op_sel:[0,0,1] op_sel_hi:[1,0,0] neg_lo:[0,0,1] neg_hi:[0,0,1]
	v_mov_b32_e32 v28, v110
	v_mov_b32_e32 v29, v87
	v_pk_add_f32 v[10:11], v[28:29], v[10:11]
	v_pk_add_f32 v[48:49], v[26:27], v[20:21]
	v_pk_mul_f32 v[28:29], v[124:125], s[18:19] op_sel:[1,0] op_sel_hi:[0,0]
	v_pk_fma_f32 v[98:99], v[48:49], s[44:45], v[28:29] op_sel_hi:[1,0,1]
	v_pk_fma_f32 v[100:101], v[48:49], s[44:45], v[28:29] op_sel_hi:[1,0,1] neg_lo:[0,0,1] neg_hi:[0,0,1]
	s_mov_b32 s20, 0xbf763a35
	v_mov_b32_e32 v28, v98
	v_mov_b32_e32 v29, v101
	s_mov_b32 s21, 0xbe8c1d8e
	s_mov_b32 s14, 0x3f763a35
	v_pk_add_f32 v[8:9], v[28:29], v[8:9]
	s_mov_b32 s48, s21
	v_pk_mul_f32 v[28:29], v[124:125], s[14:15] op_sel:[1,0] op_sel_hi:[0,0]
	v_pk_fma_f32 v[94:95], v[48:49], s[48:49], v[28:29] op_sel_hi:[1,0,1]
	v_pk_fma_f32 v[96:97], v[48:49], s[48:49], v[28:29] op_sel_hi:[1,0,1] neg_lo:[0,0,1] neg_hi:[0,0,1]
	s_mov_b32 s30, 0x3f06c442
	v_mov_b32_e32 v28, v94
	v_mov_b32_e32 v29, v97
	s_mov_b32 s31, 0xbf59a7d5
	v_pk_add_f32 v[126:127], v[22:23], v[24:25] neg_lo:[0,1] neg_hi:[0,1]
	v_pk_add_f32 v[10:11], v[28:29], v[10:11]
	s_mov_b32 s50, s31
	v_pk_add_f32 v[52:53], v[24:25], v[22:23]
	v_pk_mul_f32 v[28:29], v[126:127], s[30:31] op_sel:[1,0] op_sel_hi:[0,0]
	v_pk_fma_f32 v[106:107], v[52:53], s[50:51], v[28:29] op_sel_hi:[1,0,1]
	v_pk_fma_f32 v[108:109], v[52:53], s[50:51], v[28:29] op_sel_hi:[1,0,1] neg_lo:[0,0,1] neg_hi:[0,0,1]
	v_mov_b32_e32 v28, v106
	v_mov_b32_e32 v29, v109
	s_mov_b32 s26, 0x3f2c7751
	v_pk_add_f32 v[8:9], v[28:29], v[8:9]
	s_mov_b32 s54, s13
	v_pk_mul_f32 v[28:29], v[126:127], s[26:27] op_sel:[1,0] op_sel_hi:[0,0]
	v_pk_fma_f32 v[102:103], v[52:53], s[54:55], v[28:29] op_sel_hi:[1,0,1]
	v_pk_fma_f32 v[104:105], v[52:53], s[54:55], v[28:29] op_sel_hi:[1,0,1] neg_lo:[0,0,1] neg_hi:[0,0,1]
	v_mov_b32_e32 v28, v102
	v_mov_b32_e32 v29, v105
	v_pk_add_f32 v[142:143], v[12:13], v[18:19] neg_lo:[0,1] neg_hi:[0,1]
	v_pk_add_f32 v[10:11], v[28:29], v[10:11]
	v_pk_add_f32 v[54:55], v[18:19], v[12:13]
	v_pk_mul_f32 v[28:29], v[142:143], s[14:15] op_sel:[1,0] op_sel_hi:[0,0]
	v_pk_fma_f32 v[116:117], v[54:55], s[48:49], v[28:29] op_sel_hi:[1,0,1]
	v_pk_fma_f32 v[118:119], v[54:55], s[48:49], v[28:29] op_sel_hi:[1,0,1] neg_lo:[0,0,1] neg_hi:[0,0,1]
	s_mov_b32 s36, 0xbeb8f4ab
	v_mov_b32_e32 v28, v116
	v_mov_b32_e32 v29, v119
	s_mov_b32 s37, 0x3f6eb680
	v_pk_add_f32 v[8:9], v[28:29], v[8:9]
	s_mov_b32 s58, s37
	v_pk_mul_f32 v[28:29], v[142:143], s[36:37] op_sel:[1,0] op_sel_hi:[0,0]
	v_pk_fma_f32 v[112:113], v[54:55], s[58:59], v[28:29] op_sel_hi:[1,0,1]
	v_pk_fma_f32 v[114:115], v[54:55], s[58:59], v[28:29] op_sel_hi:[1,0,1] neg_lo:[0,0,1] neg_hi:[0,0,1]
	v_mov_b32_e32 v28, v112
	v_mov_b32_e32 v29, v115
	s_mov_b32 s22, 0x3f65296c
	v_pk_add_f32 v[144:145], v[14:15], v[16:17] neg_lo:[0,1] neg_hi:[0,1]
	v_pk_add_f32 v[10:11], v[28:29], v[10:11]
	s_mov_b32 s56, s17
	v_pk_add_f32 v[60:61], v[16:17], v[14:15]
	v_pk_mul_f32 v[28:29], v[144:145], s[22:23] op_sel:[1,0] op_sel_hi:[0,0]
	v_pk_fma_f32 v[128:129], v[60:61], s[56:57], v[28:29] op_sel_hi:[1,0,1]
	v_pk_fma_f32 v[130:131], v[60:61], s[56:57], v[28:29] op_sel_hi:[1,0,1] neg_lo:[0,0,1] neg_hi:[0,0,1]
	v_mov_b32_e32 v28, v128
	v_mov_b32_e32 v29, v131
	v_pk_add_f32 v[8:9], v[28:29], v[8:9]
	s_mov_b32 s60, s7
	v_pk_mul_f32 v[28:29], v[144:145], s[6:7] op_sel:[1,0] op_sel_hi:[0,0]
	v_pk_fma_f32 v[120:121], v[60:61], s[60:61], v[28:29] op_sel_hi:[1,0,1]
	v_pk_fma_f32 v[122:123], v[60:61], s[60:61], v[28:29] op_sel_hi:[1,0,1] neg_lo:[0,0,1] neg_hi:[0,0,1]
	v_mov_b32_e32 v28, v120
	v_mov_b32_e32 v29, v123
	s_mov_b32 s28, 0x3eb8f4ab
	v_pk_add_f32 v[154:155], v[4:5], v[6:7] neg_lo:[0,1] neg_hi:[0,1]
	v_pk_add_f32 v[28:29], v[28:29], v[10:11]
	v_pk_add_f32 v[70:71], v[6:7], v[4:5]
	v_pk_mul_f32 v[10:11], v[154:155], s[28:29] op_sel:[1,0] op_sel_hi:[0,0]
	v_pk_fma_f32 v[150:151], v[70:71], s[58:59], v[10:11] op_sel_hi:[1,0,1]
	v_pk_fma_f32 v[152:153], v[70:71], s[58:59], v[10:11] op_sel_hi:[1,0,1] neg_lo:[0,0,1] neg_hi:[0,0,1]
	s_mov_b32 s24, 0xbf06c442
	v_mov_b32_e32 v10, v150
	v_mov_b32_e32 v11, v153
	v_pk_add_f32 v[10:11], v[10:11], v[8:9]
	v_pk_mul_f32 v[8:9], v[154:155], s[24:25] op_sel:[1,0] op_sel_hi:[0,0]
	v_pk_fma_f32 v[132:133], v[70:71], s[50:51], v[8:9] op_sel_hi:[1,0,1]
	v_pk_fma_f32 v[134:135], v[70:71], s[50:51], v[8:9] op_sel_hi:[1,0,1] neg_lo:[0,0,1] neg_hi:[0,0,1]
	v_mov_b32_e32 v8, v132
	v_mov_b32_e32 v9, v135
	s_mov_b32 s52, s19
	s_mov_b32 s53, s18
	v_pk_mul_f32 v[156:157], v[62:63], s[38:39]
	v_pk_add_f32 v[8:9], v[8:9], v[28:29]
	v_pk_fma_f32 v[192:193], v[40:41], s[6:7], v[156:157]
	v_pk_fma_f32 v[28:29], v[40:41], s[6:7], v[156:157] neg_lo:[0,0,1] neg_hi:[0,0,1]
	v_pk_mul_f32 v[196:197], v[78:79], s[52:53]
	v_mov_b32_e32 v28, v192
	v_pk_fma_f32 v[194:195], v[42:43], s[18:19], v[196:197]
	v_pk_fma_f32 v[30:31], v[42:43], s[18:19], v[196:197] neg_lo:[0,0,1] neg_hi:[0,0,1]
	v_pk_add_f32 v[28:29], v[28:29], v[0:1]
	v_mov_b32_e32 v30, v194
	v_pk_add_f32 v[28:29], v[30:31], v[28:29]
	v_pk_mul_f32 v[30:31], v[50:51], s[14:15] op_sel_hi:[1,0]
	s_mov_b32 s38, s21
	v_pk_fma_f32 v[198:199], v[46:47], s[48:49], v[30:31] op_sel:[0,0,1] op_sel_hi:[1,0,0]
	v_pk_fma_f32 v[146:147], v[46:47], s[48:49], v[30:31] op_sel:[0,0,1] op_sel_hi:[1,0,0] neg_lo:[0,0,1] neg_hi:[0,0,1]
	s_mov_b32 s39, s20
	v_mov_b32_e32 v30, v198
	v_mov_b32_e32 v31, v147
	s_mov_b32 s40, s31
	s_mov_b32 s41, s30
	v_pk_mul_f32 v[214:215], v[62:63], s[38:39]
	v_pk_add_f32 v[28:29], v[30:31], v[28:29]
	v_pk_fma_f32 v[210:211], v[40:41], s[20:21], v[214:215]
	v_pk_fma_f32 v[30:31], v[40:41], s[20:21], v[214:215] neg_lo:[0,0,1] neg_hi:[0,0,1]
	v_pk_mul_f32 v[212:213], v[78:79], s[40:41]
	v_mov_b32_e32 v30, v210
	v_pk_fma_f32 v[206:207], v[42:43], s[30:31], v[212:213]
	v_pk_fma_f32 v[136:137], v[42:43], s[30:31], v[212:213] neg_lo:[0,0,1] neg_hi:[0,0,1]
	v_pk_add_f32 v[30:31], v[30:31], v[0:1]
	v_mov_b32_e32 v136, v206
	v_pk_add_f32 v[30:31], v[136:137], v[30:31]
	v_pk_mul_f32 v[136:137], v[50:51], s[26:27] op_sel_hi:[1,0]
	s_mov_b32 s40, 0x3f7ee86f
	v_pk_fma_f32 v[208:209], v[46:47], s[54:55], v[136:137] op_sel:[0,0,1] op_sel_hi:[1,0,0]
	v_pk_fma_f32 v[148:149], v[46:47], s[54:55], v[136:137] op_sel:[0,0,1] op_sel_hi:[1,0,0] neg_lo:[0,0,1] neg_hi:[0,0,1]
	v_mov_b32_e32 v136, v208
	v_mov_b32_e32 v137, v149
	v_pk_add_f32 v[30:31], v[136:137], v[30:31]
	v_pk_mul_f32 v[136:137], v[124:125], s[28:29] op_sel:[1,0] op_sel_hi:[0,0]
	v_pk_fma_f32 v[200:201], v[48:49], s[58:59], v[136:137] op_sel_hi:[1,0,1]
	v_pk_fma_f32 v[162:163], v[48:49], s[58:59], v[136:137] op_sel_hi:[1,0,1] neg_lo:[0,0,1] neg_hi:[0,0,1]
	v_mov_b32_e32 v136, v200
	v_mov_b32_e32 v137, v163
	v_pk_add_f32 v[28:29], v[136:137], v[28:29]
	v_pk_mul_f32 v[136:137], v[124:125], s[16:17] op_sel:[1,0] op_sel_hi:[0,0]
	v_pk_fma_f32 v[216:217], v[48:49], s[56:57], v[136:137] op_sel_hi:[1,0,1]
	v_pk_fma_f32 v[158:159], v[48:49], s[56:57], v[136:137] op_sel_hi:[1,0,1] neg_lo:[0,0,1] neg_hi:[0,0,1]
	v_mov_b32_e32 v136, v216
	v_mov_b32_e32 v137, v159
	v_pk_add_f32 v[30:31], v[136:137], v[30:31]
	v_pk_mul_f32 v[136:137], v[126:127], s[16:17] op_sel:[1,0] op_sel_hi:[0,0]
	v_pk_fma_f32 v[164:165], v[52:53], s[56:57], v[136:137] op_sel_hi:[1,0,1]
	v_pk_fma_f32 v[170:171], v[52:53], s[56:57], v[136:137] op_sel_hi:[1,0,1] neg_lo:[0,0,1] neg_hi:[0,0,1]
	v_mov_b32_e32 v136, v164
	v_mov_b32_e32 v137, v171
	v_pk_add_f32 v[28:29], v[136:137], v[28:29]
	v_pk_mul_f32 v[136:137], v[126:127], s[18:19] op_sel:[1,0] op_sel_hi:[0,0]
	v_pk_fma_f32 v[226:227], v[52:53], s[44:45], v[136:137] op_sel_hi:[1,0,1]
	v_pk_fma_f32 v[160:161], v[52:53], s[44:45], v[136:137] op_sel_hi:[1,0,1] neg_lo:[0,0,1] neg_hi:[0,0,1]
	v_mov_b32_e32 v136, v226
	v_mov_b32_e32 v137, v161
	v_pk_add_f32 v[30:31], v[136:137], v[30:31]
	v_pk_mul_f32 v[136:137], v[142:143], s[24:25] op_sel:[1,0] op_sel_hi:[0,0]
	v_pk_fma_f32 v[172:173], v[54:55], s[50:51], v[136:137] op_sel_hi:[1,0,1]
	v_pk_fma_f32 v[174:175], v[54:55], s[50:51], v[136:137] op_sel_hi:[1,0,1] neg_lo:[0,0,1] neg_hi:[0,0,1]
	v_mov_b32_e32 v136, v172
	v_mov_b32_e32 v137, v175
	v_pk_add_f32 v[28:29], v[136:137], v[28:29]
	v_pk_mul_f32 v[136:137], v[142:143], s[40:41] op_sel:[1,0] op_sel_hi:[0,0]
	v_pk_fma_f32 v[166:167], v[54:55], s[60:61], v[136:137] op_sel_hi:[1,0,1]
	v_pk_fma_f32 v[168:169], v[54:55], s[60:61], v[136:137] op_sel_hi:[1,0,1] neg_lo:[0,0,1] neg_hi:[0,0,1]
	v_mov_b32_e32 v136, v166
	v_mov_b32_e32 v137, v169
	s_mov_b32 s42, 0x3f4c4adb
	v_pk_add_f32 v[30:31], v[136:137], v[30:31]
	v_pk_mul_f32 v[136:137], v[144:145], s[42:43] op_sel:[1,0] op_sel_hi:[0,0]
	v_pk_fma_f32 v[184:185], v[60:61], s[46:47], v[136:137] op_sel_hi:[1,0,1]
	v_pk_fma_f32 v[186:187], v[60:61], s[46:47], v[136:137] op_sel_hi:[1,0,1] neg_lo:[0,0,1] neg_hi:[0,0,1]
	v_mov_b32_e32 v136, v184
	v_mov_b32_e32 v137, v187
	v_pk_add_f32 v[28:29], v[136:137], v[28:29]
	v_pk_mul_f32 v[136:137], v[144:145], s[36:37] op_sel:[1,0] op_sel_hi:[0,0]
	v_pk_fma_f32 v[176:177], v[60:61], s[58:59], v[136:137] op_sel_hi:[1,0,1]
	v_pk_fma_f32 v[178:179], v[60:61], s[58:59], v[136:137] op_sel_hi:[1,0,1] neg_lo:[0,0,1] neg_hi:[0,0,1]
	v_mov_b32_e32 v136, v176
	v_mov_b32_e32 v137, v179
	;; [unrolled: 6-line block ×4, first 2 shown]
	s_mov_b32 s38, s37
	s_mov_b32 s39, s36
	v_pk_add_f32 v[28:29], v[28:29], v[136:137]
	v_pk_mul_f32 v[136:137], v[76:77], s[12:13] op_sel:[1,0] op_sel_hi:[0,0]
	v_pk_mul_f32 v[246:247], v[62:63], s[38:39]
	v_pk_fma_f32 v[202:203], v[64:65], s[54:55], v[136:137] op_sel_hi:[1,0,1]
	v_pk_fma_f32 v[204:205], v[64:65], s[54:55], v[136:137] op_sel_hi:[1,0,1] neg_lo:[0,0,1] neg_hi:[0,0,1]
	v_pk_fma_f32 v[244:245], v[40:41], s[36:37], v[246:247]
	v_pk_fma_f32 v[64:65], v[40:41], s[36:37], v[246:247] neg_lo:[0,0,1] neg_hi:[0,0,1]
	v_mov_b32_e32 v136, v202
	v_mov_b32_e32 v64, v244
	v_pk_add_f32 v[64:65], v[64:65], v[0:1]
	v_mov_b32_e32 v137, v205
	v_pk_add_f32 v[64:65], v[136:137], v[64:65]
	v_pk_mul_f32 v[136:137], v[50:51], s[16:17] op_sel_hi:[1,0]
	s_nop 0
	v_pk_fma_f32 v[218:219], v[46:47], s[56:57], v[136:137] op_sel:[0,0,1] op_sel_hi:[1,0,0]
	v_pk_fma_f32 v[220:221], v[46:47], s[56:57], v[136:137] op_sel:[0,0,1] op_sel_hi:[1,0,0] neg_lo:[0,0,1] neg_hi:[0,0,1]
	v_mov_b32_e32 v136, v218
	v_mov_b32_e32 v137, v221
	v_pk_add_f32 v[64:65], v[136:137], v[64:65]
	v_pk_mul_f32 v[136:137], v[124:125], s[6:7] op_sel:[1,0] op_sel_hi:[0,0]
	v_pk_fma_f32 v[222:223], v[48:49], s[60:61], v[136:137] op_sel_hi:[1,0,1]
	v_pk_fma_f32 v[224:225], v[48:49], s[60:61], v[136:137] op_sel_hi:[1,0,1] neg_lo:[0,0,1] neg_hi:[0,0,1]
	v_mov_b32_e32 v136, v222
	v_mov_b32_e32 v137, v225
	v_pk_add_f32 v[64:65], v[136:137], v[64:65]
	v_pk_mul_f32 v[136:137], v[126:127], s[20:21] op_sel:[1,0] op_sel_hi:[0,0]
	v_pk_fma_f32 v[228:229], v[52:53], s[48:49], v[136:137] op_sel_hi:[1,0,1]
	v_pk_fma_f32 v[230:231], v[52:53], s[48:49], v[136:137] op_sel_hi:[1,0,1] neg_lo:[0,0,1] neg_hi:[0,0,1]
	;; [unrolled: 6-line block ×5, first 2 shown]
	v_mov_b32_e32 v136, v240
	v_mov_b32_e32 v137, v243
	v_pk_add_f32 v[64:65], v[136:137], v[64:65]
	s_barrier
	s_and_saveexec_b64 s[38:39], vcc
	s_cbranch_execz .LBB0_7
; %bb.6:
	v_pk_add_f32 v[2:3], v[2:3], v[0:1]
	v_pk_mul_f32 v[72:73], v[42:43], s[0:1]
	v_pk_add_f32 v[2:3], v[32:33], v[2:3]
	v_pk_mul_f32 v[252:253], v[40:41], s[36:37]
	v_pk_add_f32 v[2:3], v[34:35], v[2:3]
	v_pk_add_f32 v[72:73], v[84:85], v[72:73] neg_lo:[0,1] neg_hi:[0,1]
	v_pk_add_f32 v[2:3], v[20:21], v[2:3]
	v_mov_b32_e32 v73, v83
	v_pk_add_f32 v[2:3], v[22:23], v[2:3]
	v_pk_add_f32 v[82:83], v[246:247], v[252:253] neg_lo:[0,1] neg_hi:[0,1]
	v_pk_add_f32 v[2:3], v[12:13], v[2:3]
	v_mov_b32_e32 v83, v245
	v_pk_add_f32 v[2:3], v[14:15], v[2:3]
	v_mov_b32_e32 v205, v203
	v_pk_add_f32 v[2:3], v[4:5], v[2:3]
	v_pk_add_f32 v[4:5], v[82:83], v[0:1]
	;; [unrolled: 1-line block ×5, first 2 shown]
	v_mov_b32_e32 v221, v219
	v_pk_add_f32 v[2:3], v[18:19], v[2:3]
	v_pk_add_f32 v[4:5], v[220:221], v[4:5]
	v_mov_b32_e32 v225, v223
	v_pk_add_f32 v[2:3], v[24:25], v[2:3]
	v_pk_add_f32 v[4:5], v[224:225], v[4:5]
	v_mov_b32_e32 v231, v229
	v_mov_b32_e32 v91, v59
	v_mov_b64_e32 v[58:59], v[248:249]
	v_pk_mul_f32 v[248:249], v[42:43], s[6:7]
	v_pk_add_f32 v[2:3], v[26:27], v[2:3]
	v_pk_add_f32 v[4:5], v[230:231], v[4:5]
	v_mov_b32_e32 v235, v233
	v_pk_mul_f32 v[254:255], v[40:41], s[12:13]
	v_mov_b32_e32 v57, v250
	v_pk_mul_f32 v[250:251], v[40:41], s[16:17]
	v_pk_add_f32 v[74:75], v[74:75], v[248:249] neg_lo:[0,1] neg_hi:[0,1]
	v_mov_b64_e32 v[248:249], v[58:59]
	v_pk_add_f32 v[2:3], v[36:37], v[2:3]
	v_pk_add_f32 v[4:5], v[234:235], v[4:5]
	v_mov_b32_e32 v239, v237
	v_pk_add_f32 v[80:81], v[80:81], v[250:251] neg_lo:[0,1] neg_hi:[0,1]
	v_mov_b32_e32 v250, v57
	v_pk_add_f32 v[68:69], v[68:69], v[254:255] neg_lo:[0,1] neg_hi:[0,1]
	v_mul_lo_u16_e32 v20, 17, v248
	v_pk_add_f32 v[2:3], v[38:39], v[2:3]
	v_pk_add_f32 v[4:5], v[238:239], v[4:5]
	v_mov_b32_e32 v243, v241
	v_mov_b32_e32 v81, v93
	;; [unrolled: 1-line block ×3, first 2 shown]
	v_add_lshl_u32 v57, v250, v20, 3
	v_pk_add_f32 v[2:3], v[44:45], v[2:3]
	v_pk_add_f32 v[4:5], v[242:243], v[4:5]
	v_mov_b32_e32 v75, v91
	ds_write2_b64 v57, v[2:3], v[4:5] offset1:1
	v_pk_add_f32 v[2:3], v[68:69], v[0:1]
	v_pk_add_f32 v[4:5], v[80:81], v[0:1]
	v_mov_b32_e32 v87, v111
	v_pk_add_f32 v[2:3], v[74:75], v[2:3]
	v_mov_b32_e32 v91, v89
	v_pk_add_f32 v[4:5], v[72:73], v[4:5]
	v_pk_add_f32 v[2:3], v[90:91], v[2:3]
	v_mov_b32_e32 v101, v99
	v_pk_add_f32 v[4:5], v[86:87], v[4:5]
	v_mov_b32_e32 v97, v95
	v_mov_b32_e32 v136, v125
	v_mov_b32_e32 v137, v124
	v_pk_mul_f32 v[124:125], v[40:41], s[20:21]
	v_pk_add_f32 v[2:3], v[100:101], v[2:3]
	v_mov_b32_e32 v109, v107
	v_pk_add_f32 v[4:5], v[96:97], v[4:5]
	v_mov_b32_e32 v105, v103
	v_pk_add_f32 v[214:215], v[214:215], v[124:125] neg_lo:[0,1] neg_hi:[0,1]
	v_pk_mul_f32 v[124:125], v[42:43], s[30:31]
	s_mov_b32 s44, s31
	s_mov_b32 s45, s24
	v_pk_add_f32 v[2:3], v[108:109], v[2:3]
	v_mov_b32_e32 v119, v117
	v_pk_add_f32 v[4:5], v[104:105], v[4:5]
	v_mov_b32_e32 v115, v113
	v_mov_b32_e32 v215, v211
	v_pk_add_f32 v[210:211], v[212:213], v[124:125] neg_lo:[0,1] neg_hi:[0,1]
	v_pk_mul_f32 v[212:213], v[40:41], s[6:7]
	v_pk_mul_f32 v[124:125], v[62:63], s[44:45]
	s_mov_b32 s44, s17
	s_mov_b32 s45, s22
	v_pk_add_f32 v[2:3], v[118:119], v[2:3]
	v_mov_b32_e32 v131, v129
	v_pk_add_f32 v[4:5], v[114:115], v[4:5]
	v_mov_b32_e32 v123, v121
	v_mov_b32_e32 v102, v138
	;; [unrolled: 1-line block ×6, first 2 shown]
	v_pk_mul_f32 v[206:207], v[42:43], s[18:19]
	v_mov_b32_e32 v149, v209
	v_mov_b32_e32 v66, v77
	v_pk_mul_f32 v[126:127], v[78:79], s[44:45]
	s_mov_b32 s44, s37
	s_mov_b32 s45, s28
	v_pk_add_f32 v[208:209], v[156:157], v[212:213] neg_lo:[0,1] neg_hi:[0,1]
	v_pk_mul_f32 v[76:77], v[62:63], s[34:35]
	s_mov_b32 s34, s21
	s_mov_b32 s35, s14
	v_pk_add_f32 v[2:3], v[130:131], v[2:3]
	v_mov_b32_e32 v153, v151
	v_pk_add_f32 v[4:5], v[122:123], v[4:5]
	v_mov_b32_e32 v135, v133
	v_mov_b32_e32 v140, v143
	;; [unrolled: 1-line block ×7, first 2 shown]
	v_pk_mul_f32 v[154:155], v[62:63], s[52:53]
	v_pk_mul_f32 v[156:157], v[78:79], s[44:45]
	;; [unrolled: 1-line block ×3, first 2 shown]
	v_mov_b32_e32 v209, v193
	v_pk_add_f32 v[78:79], v[196:197], v[206:207] neg_lo:[0,1] neg_hi:[0,1]
	v_pk_add_f32 v[2:3], v[152:153], v[2:3]
	v_pk_add_f32 v[4:5], v[134:135], v[4:5]
	v_mov_b32_e32 v79, v195
	ds_write2_b64 v57, v[2:3], v[4:5] offset0:2 offset1:3
	v_pk_add_f32 v[2:3], v[208:209], v[0:1]
	v_pk_add_f32 v[4:5], v[214:215], v[0:1]
	v_mov_b32_e32 v147, v199
	v_pk_add_f32 v[2:3], v[78:79], v[2:3]
	v_pk_add_f32 v[4:5], v[210:211], v[4:5]
	v_mov_b32_e32 v159, v217
	v_mov_b32_e32 v163, v201
	v_pk_add_f32 v[2:3], v[146:147], v[2:3]
	v_pk_add_f32 v[4:5], v[148:149], v[4:5]
	v_mov_b32_e32 v161, v227
	v_pk_add_f32 v[2:3], v[162:163], v[2:3]
	v_mov_b32_e32 v171, v165
	v_pk_add_f32 v[4:5], v[158:159], v[4:5]
	v_pk_add_f32 v[2:3], v[170:171], v[2:3]
	v_mov_b32_e32 v175, v173
	v_pk_add_f32 v[4:5], v[160:161], v[4:5]
	v_mov_b32_e32 v169, v167
	;; [unrolled: 2-line block ×6, first 2 shown]
	v_pk_add_f32 v[2:3], v[190:191], v[2:3]
	v_pk_add_f32 v[4:5], v[182:183], v[4:5]
	s_mov_b32 s15, s21
	ds_write2_b64 v57, v[2:3], v[4:5] offset0:4 offset1:5
	v_pk_fma_f32 v[2:3], v[40:41], s[0:1], v[76:77] neg_lo:[1,0,0] neg_hi:[1,0,0]
	v_pk_fma_f32 v[4:5], v[40:41], s[0:1], v[76:77]
	v_pk_fma_f32 v[6:7], v[66:67], s[14:15], v[62:63] neg_lo:[1,0,0] neg_hi:[1,0,0]
	v_mov_b32_e32 v3, v5
	v_pk_fma_f32 v[12:13], v[42:43], s[14:15], v[62:63]
	v_pk_add_f32 v[2:3], v[2:3], v[0:1]
	v_mov_b32_e32 v7, v13
	v_pk_add_f32 v[2:3], v[6:7], v[2:3]
	v_pk_mul_f32 v[6:7], v[50:51], s[36:37] op_sel_hi:[1,0]
	s_mov_b32 s25, s31
	v_pk_fma_f32 v[14:15], v[46:47], s[44:45], v[6:7] op_sel:[0,0,1] op_sel_hi:[1,0,0] neg_lo:[0,0,1] neg_hi:[0,0,1]
	v_pk_fma_f32 v[6:7], v[46:47], s[44:45], v[6:7] op_sel:[0,0,1] op_sel_hi:[1,0,0]
	v_mov_b32_e32 v16, v14
	v_mov_b32_e32 v17, v7
	v_pk_add_f32 v[2:3], v[16:17], v[2:3]
	s_mov_b32 s30, s31
	v_pk_mul_f32 v[16:17], v[136:137], s[24:25] op_sel_hi:[1,0]
	s_mov_b32 s16, s7
	v_pk_fma_f32 v[18:19], v[48:49], s[30:31], v[16:17] op_sel_hi:[1,0,1] neg_lo:[0,0,1] neg_hi:[0,0,1]
	v_pk_fma_f32 v[16:17], v[48:49], s[30:31], v[16:17] op_sel_hi:[1,0,1]
	v_mov_b32_e32 v20, v18
	v_mov_b32_e32 v21, v17
	v_pk_add_f32 v[2:3], v[20:21], v[2:3]
	v_pk_mul_f32 v[20:21], v[138:139], s[40:41] op_sel_hi:[1,0]
	s_mov_b32 s34, s13
	v_pk_fma_f32 v[22:23], v[52:53], s[16:17], v[20:21] op_sel_hi:[1,0,1] neg_lo:[0,0,1] neg_hi:[0,0,1]
	v_pk_fma_f32 v[20:21], v[52:53], s[16:17], v[20:21] op_sel_hi:[1,0,1]
	v_mov_b32_e32 v24, v22
	v_mov_b32_e32 v25, v21
	v_pk_add_f32 v[2:3], v[24:25], v[2:3]
	;; [unrolled: 7-line block ×4, first 2 shown]
	s_mov_b32 s12, s17
	v_pk_mul_f32 v[36:37], v[144:145], s[22:23] op_sel_hi:[1,0]
	v_pk_fma_f32 v[82:83], v[40:41], s[24:25], v[124:125] neg_lo:[1,0,0] neg_hi:[1,0,0]
	v_pk_fma_f32 v[38:39], v[70:71], s[12:13], v[36:37] op_sel_hi:[1,0,1] neg_lo:[0,0,1] neg_hi:[0,0,1]
	v_pk_fma_f32 v[36:37], v[70:71], s[12:13], v[36:37] op_sel_hi:[1,0,1]
	v_pk_fma_f32 v[84:85], v[40:41], s[24:25], v[124:125]
	v_mov_b32_e32 v44, v38
	v_mov_b32_e32 v45, v37
	;; [unrolled: 1-line block ×3, first 2 shown]
	v_pk_fma_f32 v[86:87], v[66:67], s[22:23], v[126:127] neg_lo:[1,0,0] neg_hi:[1,0,0]
	v_pk_fma_f32 v[88:89], v[42:43], s[22:23], v[126:127]
	v_pk_add_f32 v[2:3], v[44:45], v[2:3]
	v_pk_mul_f32 v[44:45], v[50:51], s[6:7] op_sel_hi:[1,0]
	v_pk_add_f32 v[82:83], v[82:83], v[0:1]
	v_mov_b32_e32 v87, v89
	v_pk_add_f32 v[82:83], v[86:87], v[82:83]
	v_pk_fma_f32 v[86:87], v[46:47], s[16:17], v[44:45] op_sel:[0,0,1] op_sel_hi:[1,0,0] neg_lo:[0,0,1] neg_hi:[0,0,1]
	v_pk_fma_f32 v[44:45], v[46:47], s[16:17], v[44:45] op_sel:[0,0,1] op_sel_hi:[1,0,0]
	s_mov_b32 s6, s1
	v_pk_mul_f32 v[68:69], v[136:137], s[42:43] op_sel_hi:[1,0]
	v_mov_b32_e32 v90, v86
	v_mov_b32_e32 v91, v45
	v_pk_add_f32 v[82:83], v[90:91], v[82:83]
	v_pk_fma_f32 v[90:91], v[48:49], s[6:7], v[68:69] op_sel_hi:[1,0,1] neg_lo:[0,0,1] neg_hi:[0,0,1]
	v_pk_fma_f32 v[68:69], v[48:49], s[6:7], v[68:69] op_sel_hi:[1,0,1]
	v_pk_mul_f32 v[72:73], v[138:139], s[36:37] op_sel_hi:[1,0]
	v_mov_b32_e32 v92, v90
	v_mov_b32_e32 v93, v69
	v_pk_add_f32 v[82:83], v[92:93], v[82:83]
	v_pk_fma_f32 v[92:93], v[52:53], s[44:45], v[72:73] op_sel_hi:[1,0,1] neg_lo:[0,0,1] neg_hi:[0,0,1]
	v_pk_fma_f32 v[72:73], v[52:53], s[44:45], v[72:73] op_sel_hi:[1,0,1]
	;; [unrolled: 6-line block ×4, first 2 shown]
	s_mov_b32 s36, s21
	v_pk_mul_f32 v[80:81], v[144:145], s[20:21] op_sel_hi:[1,0]
	v_mov_b32_e32 v98, v96
	v_mov_b32_e32 v99, v79
	v_pk_add_f32 v[82:83], v[98:99], v[82:83]
	v_pk_fma_f32 v[98:99], v[70:71], s[36:37], v[80:81] op_sel_hi:[1,0,1] neg_lo:[0,0,1] neg_hi:[0,0,1]
	v_pk_fma_f32 v[80:81], v[70:71], s[36:37], v[80:81] op_sel_hi:[1,0,1]
	v_mov_b32_e32 v100, v98
	v_mov_b32_e32 v101, v81
	v_pk_add_f32 v[82:83], v[100:101], v[82:83]
	s_mov_b32 s29, s37
	ds_write2_b64 v57, v[2:3], v[82:83] offset0:6 offset1:7
	v_pk_mul_f32 v[82:83], v[138:139], s[0:1] op_sel_hi:[1,0]
	v_mov_b32_e32 v139, v106
	v_pk_fma_f32 v[106:107], v[40:41], s[18:19], v[154:155] neg_lo:[1,0,0] neg_hi:[1,0,0]
	v_pk_fma_f32 v[108:109], v[40:41], s[18:19], v[154:155]
	v_pk_fma_f32 v[66:67], v[66:67], s[28:29], v[156:157] neg_lo:[1,0,0] neg_hi:[1,0,0]
	v_mov_b32_e32 v107, v109
	v_pk_fma_f32 v[110:111], v[42:43], s[28:29], v[156:157]
	v_pk_mul_f32 v[2:3], v[50:51], s[24:25] op_sel_hi:[1,0]
	v_pk_add_f32 v[106:107], v[106:107], v[0:1]
	v_mov_b32_e32 v67, v111
	v_pk_add_f32 v[66:67], v[66:67], v[106:107]
	v_pk_fma_f32 v[106:107], v[46:47], s[30:31], v[2:3] op_sel:[0,0,1] op_sel_hi:[1,0,0] neg_lo:[0,0,1] neg_hi:[0,0,1]
	v_pk_fma_f32 v[2:3], v[46:47], s[30:31], v[2:3] op_sel:[0,0,1] op_sel_hi:[1,0,0]
	v_pk_mul_f32 v[50:51], v[136:137], s[26:27] op_sel_hi:[1,0]
	v_mov_b32_e32 v46, v106
	v_mov_b32_e32 v47, v3
	v_pk_add_f32 v[46:47], v[46:47], v[66:67]
	v_pk_fma_f32 v[66:67], v[48:49], s[34:35], v[50:51] op_sel_hi:[1,0,1] neg_lo:[0,0,1] neg_hi:[0,0,1]
	v_pk_fma_f32 v[48:49], v[48:49], s[34:35], v[50:51] op_sel_hi:[1,0,1]
	v_mov_b32_e32 v50, v66
	v_mov_b32_e32 v51, v49
	v_pk_add_f32 v[46:47], v[50:51], v[46:47]
	v_pk_fma_f32 v[50:51], v[52:53], s[6:7], v[82:83] op_sel_hi:[1,0,1] neg_lo:[0,0,1] neg_hi:[0,0,1]
	v_pk_fma_f32 v[52:53], v[52:53], s[6:7], v[82:83] op_sel_hi:[1,0,1]
	v_pk_mul_f32 v[100:101], v[140:141], s[22:23] op_sel_hi:[1,0]
	v_mov_b32_e32 v82, v50
	v_mov_b32_e32 v83, v53
	v_pk_add_f32 v[46:47], v[82:83], v[46:47]
	v_pk_fma_f32 v[82:83], v[54:55], s[12:13], v[100:101] op_sel_hi:[1,0,1] neg_lo:[0,0,1] neg_hi:[0,0,1]
	v_pk_fma_f32 v[54:55], v[54:55], s[12:13], v[100:101] op_sel_hi:[1,0,1]
	v_mov_b32_e32 v138, v102
	v_pk_mul_f32 v[102:103], v[142:143], s[20:21] op_sel_hi:[1,0]
	v_mov_b32_e32 v100, v82
	v_mov_b32_e32 v101, v55
	v_pk_add_f32 v[46:47], v[100:101], v[46:47]
	v_pk_fma_f32 v[100:101], v[60:61], s[36:37], v[102:103] op_sel_hi:[1,0,1] neg_lo:[0,0,1] neg_hi:[0,0,1]
	v_pk_fma_f32 v[60:61], v[60:61], s[36:37], v[102:103] op_sel_hi:[1,0,1]
	v_pk_mul_f32 v[104:105], v[144:145], s[40:41] op_sel_hi:[1,0]
	v_mov_b32_e32 v102, v100
	v_mov_b32_e32 v103, v61
	v_pk_add_f32 v[46:47], v[102:103], v[46:47]
	v_pk_fma_f32 v[102:103], v[70:71], s[16:17], v[104:105] op_sel_hi:[1,0,1] neg_lo:[0,0,1] neg_hi:[0,0,1]
	v_pk_fma_f32 v[70:71], v[70:71], s[16:17], v[104:105] op_sel_hi:[1,0,1]
	v_mov_b32_e32 v104, v102
	v_mov_b32_e32 v105, v71
	v_pk_add_f32 v[46:47], v[104:105], v[46:47]
	v_pk_fma_f32 v[104:105], v[40:41], s[18:19], v[154:155] neg_lo:[0,0,1] neg_hi:[0,0,1]
	v_mov_b32_e32 v3, v107
	v_mov_b32_e32 v109, v105
	v_pk_add_f32 v[104:105], v[108:109], v[0:1]
	v_pk_fma_f32 v[108:109], v[42:43], s[28:29], v[156:157] neg_lo:[0,0,1] neg_hi:[0,0,1]
	v_mov_b32_e32 v49, v67
	v_mov_b32_e32 v111, v109
	v_pk_add_f32 v[104:105], v[110:111], v[104:105]
	v_mov_b32_e32 v53, v51
	v_pk_add_f32 v[2:3], v[2:3], v[104:105]
	;; [unrolled: 2-line block ×7, first 2 shown]
	ds_write2_b64 v57, v[46:47], v[2:3] offset0:8 offset1:9
	v_pk_fma_f32 v[2:3], v[40:41], s[24:25], v[124:125] neg_lo:[0,0,1] neg_hi:[0,0,1]
	v_pk_fma_f32 v[40:41], v[40:41], s[0:1], v[76:77] neg_lo:[0,0,1] neg_hi:[0,0,1]
	v_mov_b32_e32 v85, v3
	v_mov_b32_e32 v5, v41
	v_pk_add_f32 v[2:3], v[84:85], v[0:1]
	v_pk_fma_f32 v[46:47], v[42:43], s[22:23], v[126:127] neg_lo:[0,0,1] neg_hi:[0,0,1]
	v_pk_add_f32 v[0:1], v[4:5], v[0:1]
	v_pk_fma_f32 v[4:5], v[42:43], s[14:15], v[62:63] neg_lo:[0,0,1] neg_hi:[0,0,1]
	v_mov_b32_e32 v89, v47
	v_mov_b32_e32 v13, v5
	v_pk_add_f32 v[2:3], v[88:89], v[2:3]
	v_pk_add_f32 v[0:1], v[12:13], v[0:1]
	;; [unrolled: 1-line block ×3, first 2 shown]
	v_mov_b32_e32 v69, v91
	v_pk_add_f32 v[0:1], v[6:7], v[0:1]
	v_mov_b32_e32 v17, v19
	v_pk_add_f32 v[2:3], v[68:69], v[2:3]
	v_mov_b32_e32 v73, v93
	v_pk_add_f32 v[0:1], v[16:17], v[0:1]
	v_mov_b32_e32 v21, v23
	v_pk_add_f32 v[2:3], v[72:73], v[2:3]
	v_mov_b32_e32 v75, v95
	v_pk_add_f32 v[0:1], v[20:21], v[0:1]
	v_mov_b32_e32 v25, v27
	v_pk_add_f32 v[2:3], v[74:75], v[2:3]
	v_mov_b32_e32 v79, v97
	v_pk_add_f32 v[0:1], v[24:25], v[0:1]
	v_mov_b32_e32 v33, v35
	v_pk_add_f32 v[2:3], v[78:79], v[2:3]
	v_mov_b32_e32 v81, v99
	v_pk_add_f32 v[0:1], v[32:33], v[0:1]
	v_mov_b32_e32 v37, v39
	v_pk_add_f32 v[2:3], v[80:81], v[2:3]
	v_pk_add_f32 v[0:1], v[36:37], v[0:1]
	ds_write2_b64 v57, v[2:3], v[0:1] offset0:10 offset1:11
	ds_write2_b64 v57, v[28:29], v[30:31] offset0:12 offset1:13
	;; [unrolled: 1-line block ×3, first 2 shown]
	ds_write_b64 v57, v[64:65] offset:128
.LBB0_7:
	s_or_b64 exec, exec, s[38:39]
	v_mad_u64_u32 v[40:41], s[0:1], v248, 24, s[10:11]
	v_lshl_add_u64 v[42:43], v[248:249], 0, 34
	s_movk_i32 s0, 0xf1
	s_load_dwordx4 s[4:7], s[4:5], 0x0
	s_waitcnt lgkmcnt(0)
	s_barrier
	global_load_dwordx4 v[0:3], v[40:41], off
	global_load_dwordx2 v[60:61], v[40:41], off offset:16
	v_mul_lo_u16_sdwa v4, v42, s0 dst_sel:DWORD dst_unused:UNUSED_PAD src0_sel:BYTE_0 src1_sel:DWORD
	v_lshrrev_b16_e32 v4, 12, v4
	v_mul_lo_u16_e32 v4, 17, v4
	v_sub_u16_e32 v4, v42, v4
	v_and_b32_e32 v43, 0xff, v4
	v_mad_u64_u32 v[12:13], s[0:1], v43, 24, s[10:11]
	global_load_dwordx4 v[4:7], v[12:13], off
	global_load_dwordx2 v[142:143], v[12:13], off offset:16
	v_add_lshl_u32 v57, v250, v248, 3
	ds_read2_b64 v[12:15], v57 offset1:17
	ds_read2_b64 v[16:19], v57 offset0:34 offset1:51
	ds_read2_b64 v[20:23], v57 offset0:102 offset1:119
	;; [unrolled: 1-line block ×5, first 2 shown]
	s_waitcnt lgkmcnt(0)
	s_barrier
	v_lshlrev_b32_e32 v58, 4, v248
	v_add_lshl_u32 v140, v250, v43, 3
	v_lshl_add_u32 v247, v248, 3, v139
	s_waitcnt vmcnt(3)
	v_mov_b32_e32 v44, v3
	v_pk_mul_f32 v[46:47], v[18:19], v[0:1] op_sel:[0,1]
	s_waitcnt vmcnt(2)
	v_pk_mul_f32 v[48:49], v[26:27], v[60:61] op_sel:[0,1]
	v_pk_mul_f32 v[50:51], v[32:33], v[0:1] op_sel_hi:[1,0]
	v_pk_mul_f32 v[52:53], v[36:37], v[60:61] op_sel_hi:[1,0]
	;; [unrolled: 1-line block ×3, first 2 shown]
	v_pk_fma_f32 v[66:67], v[18:19], v[0:1], v[46:47] op_sel:[0,0,1] op_sel_hi:[1,1,0] neg_lo:[0,0,1] neg_hi:[0,0,1]
	v_pk_fma_f32 v[18:19], v[18:19], v[0:1], v[46:47] op_sel:[0,0,1] op_sel_hi:[1,0,0]
	v_pk_fma_f32 v[46:47], v[26:27], v[60:61], v[48:49] op_sel:[0,0,1] op_sel_hi:[1,1,0] neg_lo:[0,0,1] neg_hi:[0,0,1]
	v_pk_fma_f32 v[26:27], v[26:27], v[60:61], v[48:49] op_sel:[0,0,1] op_sel_hi:[1,0,0]
	v_pk_fma_f32 v[48:49], v[32:33], v[0:1], v[50:51] op_sel:[0,1,1] op_sel_hi:[1,1,0]
	v_pk_fma_f32 v[32:33], v[32:33], v[0:1], v[50:51] op_sel:[0,1,1] op_sel_hi:[1,1,0] neg_lo:[1,0,0] neg_hi:[1,0,0]
	v_pk_fma_f32 v[50:51], v[36:37], v[60:61], v[52:53] op_sel:[0,1,1] op_sel_hi:[1,1,0]
	v_pk_fma_f32 v[36:37], v[36:37], v[60:61], v[52:53] op_sel:[0,1,1] op_sel_hi:[1,1,0] neg_lo:[1,0,0] neg_hi:[1,0,0]
	v_pk_fma_f32 v[52:53], v[20:21], v[2:3], v[54:55] op_sel:[0,0,1] op_sel_hi:[1,1,0] neg_lo:[0,0,1] neg_hi:[0,0,1]
	v_pk_fma_f32 v[20:21], v[20:21], v[2:3], v[54:55] op_sel:[0,0,1] op_sel_hi:[1,0,0]
	v_pk_mul_f32 v[44:45], v[22:23], v[44:45] op_sel_hi:[1,0]
	v_mov_b32_e32 v67, v19
	v_mov_b32_e32 v47, v27
	;; [unrolled: 1-line block ×3, first 2 shown]
	v_pk_fma_f32 v[18:19], v[22:23], v[2:3], v[44:45] op_sel:[0,0,1] op_sel_hi:[1,1,0] neg_lo:[0,0,1] neg_hi:[0,0,1]
	v_pk_fma_f32 v[22:23], v[22:23], v[2:3], v[44:45] op_sel:[0,0,1] op_sel_hi:[1,0,0]
	v_pk_add_f32 v[20:21], v[66:67], v[46:47] neg_lo:[0,1] neg_hi:[0,1]
	v_pk_add_f32 v[26:27], v[12:13], v[52:53] neg_lo:[0,1] neg_hi:[0,1]
	v_mov_b32_e32 v49, v33
	v_mov_b32_e32 v51, v37
	;; [unrolled: 1-line block ×3, first 2 shown]
	v_pk_fma_f32 v[32:33], v[66:67], 2.0, v[20:21] op_sel_hi:[1,0,1] neg_lo:[0,0,1] neg_hi:[0,0,1]
	v_pk_add_f32 v[44:45], v[26:27], v[20:21] op_sel:[0,1] op_sel_hi:[1,0] neg_lo:[0,1] neg_hi:[0,1]
	v_pk_add_f32 v[20:21], v[26:27], v[20:21] op_sel:[0,1] op_sel_hi:[1,0]
	v_pk_add_f32 v[22:23], v[48:49], v[50:51] neg_lo:[0,1] neg_hi:[0,1]
	v_pk_add_f32 v[18:19], v[14:15], v[18:19] neg_lo:[0,1] neg_hi:[0,1]
	v_pk_fma_f32 v[12:13], v[12:13], 2.0, v[26:27] op_sel_hi:[1,0,1] neg_lo:[0,0,1] neg_hi:[0,0,1]
	s_waitcnt vmcnt(1)
	v_mov_b32_e32 v20, v7
	v_pk_fma_f32 v[36:37], v[48:49], 2.0, v[22:23] op_sel_hi:[1,0,1] neg_lo:[0,0,1] neg_hi:[0,0,1]
	v_pk_add_f32 v[46:47], v[18:19], v[22:23] neg_lo:[0,1] neg_hi:[0,1]
	v_pk_add_f32 v[22:23], v[18:19], v[22:23]
	v_pk_add_f32 v[32:33], v[12:13], v[32:33] neg_lo:[0,1] neg_hi:[0,1]
	v_mov_b32_e32 v45, v21
	v_pk_mul_f32 v[48:49], v[34:35], v[4:5] op_sel_hi:[1,0]
	s_waitcnt vmcnt(0)
	v_pk_mul_f32 v[50:51], v[38:39], v[142:143] op_sel_hi:[1,0]
	v_pk_mul_f32 v[20:21], v[24:25], v[20:21] op_sel_hi:[1,0]
	v_mov_b32_e32 v47, v23
	v_pk_fma_f32 v[12:13], v[12:13], 2.0, v[32:33] op_sel_hi:[1,0,1] neg_lo:[0,0,1] neg_hi:[0,0,1]
	v_pk_fma_f32 v[22:23], v[26:27], 2.0, v[44:45] op_sel_hi:[1,0,1] neg_lo:[0,0,1] neg_hi:[0,0,1]
	v_pk_fma_f32 v[26:27], v[34:35], v[4:5], v[48:49] op_sel:[0,1,1] op_sel_hi:[1,1,0]
	v_pk_fma_f32 v[34:35], v[34:35], v[4:5], v[48:49] op_sel:[0,1,1] op_sel_hi:[1,1,0] neg_lo:[1,0,0] neg_hi:[1,0,0]
	v_pk_fma_f32 v[48:49], v[38:39], v[142:143], v[50:51] op_sel:[0,1,1] op_sel_hi:[1,1,0]
	v_pk_fma_f32 v[38:39], v[38:39], v[142:143], v[50:51] op_sel:[0,1,1] op_sel_hi:[1,1,0] neg_lo:[1,0,0] neg_hi:[1,0,0]
	ds_write2_b64 v57, v[32:33], v[44:45] offset0:34 offset1:51
	v_pk_fma_f32 v[32:33], v[24:25], v[6:7], v[20:21] op_sel:[0,0,1] op_sel_hi:[1,1,0] neg_lo:[0,0,1] neg_hi:[0,0,1]
	v_pk_fma_f32 v[20:21], v[24:25], v[6:7], v[20:21] op_sel:[0,0,1] op_sel_hi:[1,0,0]
	v_mov_b32_e32 v27, v35
	v_mov_b32_e32 v49, v39
	;; [unrolled: 1-line block ×3, first 2 shown]
	ds_write2_b64 v57, v[12:13], v[22:23] offset1:17
	v_pk_add_f32 v[12:13], v[26:27], v[48:49] neg_lo:[0,1] neg_hi:[0,1]
	v_pk_add_f32 v[20:21], v[16:17], v[32:33] neg_lo:[0,1] neg_hi:[0,1]
	v_pk_fma_f32 v[14:15], v[14:15], 2.0, v[18:19] op_sel_hi:[1,0,1] neg_lo:[0,0,1] neg_hi:[0,0,1]
	v_pk_add_f32 v[22:23], v[20:21], v[12:13] neg_lo:[0,1] neg_hi:[0,1]
	v_pk_add_f32 v[24:25], v[20:21], v[12:13]
	v_pk_fma_f32 v[18:19], v[18:19], 2.0, v[46:47] op_sel_hi:[1,0,1] neg_lo:[0,0,1] neg_hi:[0,0,1]
	v_mov_b32_e32 v23, v25
	v_pk_add_f32 v[24:25], v[14:15], v[36:37] op_sel:[0,1] op_sel_hi:[1,0] neg_lo:[0,1] neg_hi:[0,1]
	v_pk_fma_f32 v[16:17], v[16:17], 2.0, v[20:21] op_sel_hi:[1,0,1] neg_lo:[0,0,1] neg_hi:[0,0,1]
	v_pk_fma_f32 v[14:15], v[14:15], 2.0, v[24:25] op_sel_hi:[1,0,1] neg_lo:[0,0,1] neg_hi:[0,0,1]
	;; [unrolled: 1-line block ×3, first 2 shown]
	ds_write2_b64 v57, v[14:15], v[18:19] offset0:68 offset1:85
	ds_write2_b64 v57, v[24:25], v[46:47] offset0:102 offset1:119
	v_pk_fma_f32 v[14:15], v[20:21], 2.0, v[22:23] op_sel_hi:[1,0,1] neg_lo:[0,0,1] neg_hi:[0,0,1]
	v_pk_add_f32 v[12:13], v[16:17], v[12:13] op_sel:[0,1] op_sel_hi:[1,0] neg_lo:[0,1] neg_hi:[0,1]
	v_sub_co_u32_e64 v20, s[0:1], v40, v56
	v_pk_fma_f32 v[16:17], v[16:17], 2.0, v[12:13] op_sel_hi:[1,0,1] neg_lo:[0,0,1] neg_hi:[0,0,1]
	s_nop 0
	v_subbrev_co_u32_e64 v21, s[0:1], 0, v41, s[0:1]
	ds_write2_b64 v140, v[16:17], v[14:15] offset0:136 offset1:153
	ds_write2_b64 v140, v[12:13], v[22:23] offset0:170 offset1:187
	s_waitcnt lgkmcnt(0)
	s_barrier
	v_add_u32_e32 v12, 0x110, v58
	global_load_dwordx4 v[24:27], v[20:21], off offset:408
	v_lshlrev_b32_e32 v20, 4, v42
	global_load_dwordx4 v[16:19], v12, s[10:11] offset:408
	s_mov_b32 s0, 0x3f5db3d7
	global_load_dwordx4 v[20:23], v20, s[10:11] offset:408
	v_add_u32_e32 v12, 0x330, v58
	global_load_dwordx4 v[12:15], v12, s[10:11] offset:408
	ds_read2_b64 v[32:35], v57 offset0:68 offset1:85
	ds_read2_b64 v[36:39], v57 offset0:136 offset1:153
	;; [unrolled: 1-line block ×4, first 2 shown]
	ds_read2_b64 v[48:51], v57 offset1:17
	ds_read2_b64 v[52:55], v57 offset0:34 offset1:51
	s_waitcnt lgkmcnt(5)
	v_mov_b32_e32 v66, v35
	s_waitcnt vmcnt(3)
	v_mov_b32_e32 v84, v27
	v_pk_mul_f32 v[82:83], v[32:33], v[24:25] op_sel:[0,1]
	s_waitcnt vmcnt(2)
	v_pk_mul_f32 v[68:69], v[34:35], v[16:17]
	v_mov_b32_e32 v70, v17
	v_mov_b32_e32 v67, v18
	s_waitcnt lgkmcnt(4)
	v_pk_mul_f32 v[72:73], v[38:39], v[18:19]
	v_pk_mul_f32 v[74:75], v[38:39], v[18:19] op_sel:[1,0] op_sel_hi:[0,1]
	s_waitcnt vmcnt(0) lgkmcnt(3)
	v_pk_mul_f32 v[76:77], v[42:43], v[12:13] op_sel:[1,0] op_sel_hi:[0,1]
	s_waitcnt lgkmcnt(2)
	v_pk_mul_f32 v[80:81], v[46:47], v[14:15] op_sel:[1,0] op_sel_hi:[0,1]
	v_mov_b32_e32 v74, v13
	v_mov_b32_e32 v78, v15
	v_pk_mul_f32 v[86:87], v[40:41], v[20:21] op_sel:[0,1]
	v_pk_mul_f32 v[34:35], v[34:35], v[70:71]
	v_pk_mul_f32 v[70:71], v[38:39], v[66:67] op_sel:[1,0] op_sel_hi:[0,1]
	v_mov_b32_e32 v72, v69
	v_mov_b32_e32 v67, v76
	;; [unrolled: 1-line block ×3, first 2 shown]
	v_pk_mul_f32 v[80:81], v[36:37], v[84:85] op_sel_hi:[1,0]
	v_mov_b32_e32 v90, v75
	v_pk_mul_f32 v[74:75], v[42:43], v[74:75] op_sel:[1,0] op_sel_hi:[0,1]
	v_pk_mul_f32 v[76:77], v[46:47], v[78:79] op_sel:[1,0] op_sel_hi:[0,1]
	v_pk_fma_f32 v[78:79], v[32:33], v[24:25], v[82:83] op_sel:[1,0,0] op_sel_hi:[0,1,1]
	v_pk_fma_f32 v[32:33], v[32:33], v[24:25], v[82:83] op_sel:[1,0,0] op_sel_hi:[0,0,1] neg_lo:[0,0,1] neg_hi:[0,0,1]
	v_pk_fma_f32 v[82:83], v[40:41], v[20:21], v[86:87] op_sel:[0,0,1] op_sel_hi:[1,1,0] neg_lo:[0,0,1] neg_hi:[0,0,1]
	v_pk_fma_f32 v[40:41], v[40:41], v[20:21], v[86:87] op_sel:[0,0,1] op_sel_hi:[1,0,0]
	v_pk_fma_f32 v[86:87], v[66:67], v[16:17], v[34:35]
	v_pk_fma_f32 v[34:35], v[36:37], v[26:27], v[80:81] op_sel:[1,0,0] op_sel_hi:[0,1,1]
	v_pk_fma_f32 v[36:37], v[36:37], v[26:27], v[80:81] op_sel:[1,0,0] op_sel_hi:[0,0,1] neg_lo:[0,0,1] neg_hi:[0,0,1]
	v_pk_fma_f32 v[74:75], v[42:43], v[12:13], v[74:75] neg_lo:[0,0,1] neg_hi:[0,0,1]
	v_pk_fma_f32 v[66:67], v[42:43], v[12:13], v[66:67] op_sel:[1,0,0] op_sel_hi:[0,1,1]
	v_mov_b32_e32 v79, v33
	v_mov_b32_e32 v32, v33
	;; [unrolled: 1-line block ×7, first 2 shown]
	v_pk_add_f32 v[36:37], v[32:33], v[42:43]
	v_pk_mul_f32 v[84:85], v[44:45], v[88:89] op_sel_hi:[1,0]
	v_mov_b32_e32 v70, v68
	v_pk_add_f32 v[34:35], v[78:79], v[34:35] neg_lo:[0,1] neg_hi:[0,1]
	s_waitcnt lgkmcnt(1)
	v_pk_fma_f32 v[36:37], v[36:37], 0.5, v[48:49] op_sel_hi:[1,0,1] neg_lo:[1,0,0] neg_hi:[1,0,0]
	v_pk_fma_f32 v[88:89], v[38:39], v[18:19], v[90:91] op_sel:[1,0,0] op_sel_hi:[0,1,1]
	v_mov_b32_e32 v83, v41
	v_pk_fma_f32 v[38:39], v[44:45], v[22:23], v[84:85] op_sel:[0,0,1] op_sel_hi:[1,0,0]
	v_pk_add_f32 v[40:41], v[70:71], v[72:73] neg_lo:[0,1] neg_hi:[0,1]
	v_pk_fma_f32 v[72:73], v[34:35], s[0:1], v[36:37] op_sel_hi:[1,0,1]
	v_pk_fma_f32 v[36:37], v[34:35], s[0:1], v[36:37] op_sel_hi:[1,0,1] neg_lo:[1,0,0] neg_hi:[1,0,0]
	v_pk_fma_f32 v[76:77], v[46:47], v[14:15], v[76:77] neg_lo:[0,0,1] neg_hi:[0,0,1]
	v_pk_fma_f32 v[68:69], v[46:47], v[14:15], v[68:69] op_sel:[1,0,0] op_sel_hi:[0,1,1]
	v_pk_fma_f32 v[46:47], v[44:45], v[22:23], v[84:85] op_sel:[0,0,1] op_sel_hi:[1,1,0] neg_lo:[0,0,1] neg_hi:[0,0,1]
	v_mov_b32_e32 v38, v41
	v_mov_b32_e32 v35, v37
	v_pk_add_f32 v[32:33], v[48:49], v[32:33]
	v_mov_b32_e32 v37, v86
	v_pk_add_f32 v[44:45], v[86:87], v[88:89]
	v_pk_add_f32 v[70:71], v[40:41], v[38:39]
	v_mov_b32_e32 v47, v39
	v_pk_add_f32 v[32:33], v[32:33], v[42:43]
	v_pk_add_f32 v[38:39], v[50:51], v[40:41]
	;; [unrolled: 1-line block ×3, first 2 shown]
	v_mov_b32_e32 v71, v44
	v_mov_b32_e32 v39, v43
	;; [unrolled: 1-line block ×6, first 2 shown]
	v_pk_add_f32 v[38:39], v[38:39], v[42:43]
	v_pk_fma_f32 v[42:43], v[70:71], 0.5, v[50:51] op_sel_hi:[1,0,1] neg_lo:[1,0,0] neg_hi:[1,0,0]
	v_pk_add_f32 v[40:41], v[86:87], v[88:89] neg_lo:[0,1] neg_hi:[0,1]
	v_pk_add_f32 v[48:49], v[82:83], v[46:47]
	v_pk_fma_f32 v[44:45], v[40:41], s[0:1], v[42:43] op_sel_hi:[1,0,1]
	v_pk_fma_f32 v[42:43], v[40:41], s[0:1], v[42:43] op_sel_hi:[1,0,1] neg_lo:[1,0,0] neg_hi:[1,0,0]
	v_mov_b32_e32 v75, v67
	v_mov_b32_e32 v77, v69
	;; [unrolled: 1-line block ×5, first 2 shown]
	s_waitcnt lgkmcnt(0)
	v_pk_add_f32 v[44:45], v[52:53], v[82:83]
	v_pk_fma_f32 v[48:49], v[48:49], 0.5, v[52:53] op_sel_hi:[1,0,1] neg_lo:[1,0,0] neg_hi:[1,0,0]
	v_pk_add_f32 v[52:53], v[74:75], v[76:77]
	v_pk_add_f32 v[44:45], v[44:45], v[46:47]
	v_pk_add_f32 v[46:47], v[82:83], v[46:47] neg_lo:[0,1] neg_hi:[0,1]
	v_pk_add_f32 v[50:51], v[54:55], v[74:75]
	v_pk_fma_f32 v[52:53], v[52:53], 0.5, v[54:55] op_sel_hi:[1,0,1] neg_lo:[1,0,0] neg_hi:[1,0,0]
	v_pk_add_f32 v[54:55], v[74:75], v[76:77] neg_lo:[0,1] neg_hi:[0,1]
	v_pk_mul_f32 v[46:47], v[46:47], s[0:1] op_sel_hi:[1,0]
	v_pk_mul_f32 v[54:55], v[54:55], s[0:1] op_sel_hi:[1,0]
	v_pk_add_f32 v[70:71], v[48:49], v[46:47] op_sel:[0,1] op_sel_hi:[1,0]
	v_pk_add_f32 v[48:49], v[48:49], v[46:47] op_sel:[0,1] op_sel_hi:[1,0] neg_lo:[0,1] neg_hi:[0,1]
	v_pk_add_f32 v[66:67], v[52:53], v[54:55] op_sel:[0,1] op_sel_hi:[1,0]
	v_pk_add_f32 v[54:55], v[52:53], v[54:55] op_sel:[0,1] op_sel_hi:[1,0] neg_lo:[0,1] neg_hi:[0,1]
	v_mov_b32_e32 v34, v72
	v_mov_b32_e32 v46, v70
	;; [unrolled: 1-line block ×3, first 2 shown]
	v_pk_add_f32 v[50:51], v[50:51], v[76:77]
	v_mov_b32_e32 v52, v66
	v_mov_b32_e32 v53, v55
	;; [unrolled: 1-line block ×4, first 2 shown]
	v_add_u32_e32 v86, v56, v139
	v_mov_b32_e32 v49, v71
	ds_write2_b64 v247, v[32:33], v[38:39] offset1:17
	ds_write2_b64 v247, v[34:35], v[40:41] offset0:68 offset1:85
	ds_write2_b64 v247, v[36:37], v[42:43] offset0:136 offset1:153
	ds_write_b64 v247, v[44:45] offset:272
	ds_write_b64 v86, v[46:47] offset:816
	;; [unrolled: 1-line block ×6, first 2 shown]
	s_waitcnt lgkmcnt(0)
	s_barrier
	s_and_saveexec_b64 s[0:1], vcc
	s_cbranch_execz .LBB0_9
; %bb.8:
	global_load_dwordx2 v[96:97], v56, s[2:3] offset:1632
	s_add_u32 s10, s2, 0x660
	s_addc_u32 s11, s3, 0
	global_load_dwordx2 v[98:99], v56, s[10:11] offset:96
	global_load_dwordx2 v[100:101], v56, s[10:11] offset:192
	;; [unrolled: 1-line block ×15, first 2 shown]
	ds_read2_b64 v[66:69], v247 offset1:12
	ds_read2_b64 v[70:73], v247 offset0:24 offset1:36
	global_load_dwordx2 v[128:129], v56, s[10:11] offset:1536
	ds_read2_b64 v[74:77], v247 offset0:48 offset1:60
	ds_read2_b64 v[78:81], v247 offset0:72 offset1:84
	;; [unrolled: 1-line block ×5, first 2 shown]
	s_waitcnt vmcnt(14) lgkmcnt(5)
	v_mul_f32_e32 v59, v71, v101
	s_waitcnt vmcnt(13)
	v_mul_f32_e32 v62, v73, v103
	s_waitcnt vmcnt(12) lgkmcnt(4)
	v_mul_f32_e32 v63, v75, v105
	s_waitcnt vmcnt(11)
	v_mul_f32_e32 v87, v77, v107
	;; [unrolled: 4-line block ×5, first 2 shown]
	v_mul_f32_e32 v58, v67, v97
	v_mul_f32_e32 v131, v66, v97
	v_fma_f32 v130, v66, v96, -v58
	v_fmac_f32_e32 v131, v67, v96
	v_mul_f32_e32 v58, v69, v99
	v_mul_f32_e32 v67, v68, v99
	;; [unrolled: 1-line block ×12, first 2 shown]
	v_fma_f32 v66, v68, v98, -v58
	v_fmac_f32_e32 v67, v69, v98
	v_fma_f32 v96, v70, v100, -v59
	v_fmac_f32_e32 v97, v71, v100
	;; [unrolled: 2-line block ×11, first 2 shown]
	ds_write2_b64 v247, v[130:131], v[66:67] offset1:12
	ds_write2_b64 v247, v[96:97], v[98:99] offset0:24 offset1:36
	ds_write2_b64 v247, v[100:101], v[102:103] offset0:48 offset1:60
	;; [unrolled: 1-line block ×5, first 2 shown]
	ds_read2_b64 v[66:69], v247 offset0:168 offset1:180
	s_waitcnt vmcnt(4) lgkmcnt(7)
	v_mul_f32_e32 v119, v93, v121
	v_mul_f32_e32 v117, v92, v121
	s_waitcnt vmcnt(3)
	v_mul_f32_e32 v121, v95, v123
	v_mul_f32_e32 v71, v94, v123
	v_fma_f32 v116, v92, v120, -v119
	v_fmac_f32_e32 v117, v93, v120
	v_fma_f32 v70, v94, v122, -v121
	v_fmac_f32_e32 v71, v95, v122
	ds_write2_b64 v247, v[116:117], v[70:71] offset0:144 offset1:156
	s_waitcnt vmcnt(2) lgkmcnt(1)
	v_mul_f32_e32 v58, v67, v125
	v_mul_f32_e32 v71, v66, v125
	v_fma_f32 v70, v66, v124, -v58
	v_fmac_f32_e32 v71, v67, v124
	ds_read_b64 v[66:67], v247 offset:1536
	s_waitcnt vmcnt(1)
	v_mul_f32_e32 v58, v69, v127
	v_mul_f32_e32 v73, v68, v127
	v_fma_f32 v72, v68, v126, -v58
	v_fmac_f32_e32 v73, v69, v126
	s_waitcnt vmcnt(0) lgkmcnt(0)
	v_mul_f32_e32 v58, v67, v129
	v_mul_f32_e32 v69, v66, v129
	v_fma_f32 v68, v66, v128, -v58
	v_fmac_f32_e32 v69, v67, v128
	ds_write2_b64 v247, v[70:71], v[72:73] offset0:168 offset1:180
	ds_write_b64 v247, v[68:69] offset:1536
.LBB0_9:
	s_or_b64 exec, exec, s[0:1]
	s_waitcnt lgkmcnt(0)
	s_barrier
	s_and_saveexec_b64 s[0:1], vcc
	s_cbranch_execz .LBB0_11
; %bb.10:
	ds_read2_b64 v[32:35], v247 offset1:12
	ds_read2_b64 v[36:39], v247 offset0:24 offset1:36
	ds_read2_b64 v[40:43], v247 offset0:48 offset1:60
	;; [unrolled: 1-line block ×7, first 2 shown]
	ds_read_b64 v[64:65], v247 offset:1536
.LBB0_11:
	s_or_b64 exec, exec, s[0:1]
	v_mov_b32_e32 v74, v2
	v_mov_b32_e32 v75, v2
	;; [unrolled: 1-line block ×26, first 2 shown]
	v_add_u32_e32 v59, 0x110, v86
	v_add_u32_e32 v58, 0x198, v86
	s_waitcnt lgkmcnt(0)
	s_barrier
	s_and_saveexec_b64 s[0:1], vcc
	s_cbranch_execz .LBB0_13
; %bb.12:
	v_pk_add_f32 v[86:87], v[34:35], v[32:33]
	v_pk_add_f32 v[180:181], v[34:35], v[64:65] neg_lo:[0,1] neg_hi:[0,1]
	v_pk_add_f32 v[86:87], v[36:37], v[86:87]
	s_mov_b32 s26, 0xbeb8f4ab
	v_pk_add_f32 v[86:87], v[38:39], v[86:87]
	v_accvgpr_write_b32 a1, v58
	v_pk_add_f32 v[86:87], v[40:41], v[86:87]
	v_mul_lo_u16_e32 v58, 17, v248
	v_pk_add_f32 v[86:87], v[42:43], v[86:87]
	v_pk_add_f32 v[176:177], v[64:65], v[34:35]
	;; [unrolled: 1-line block ×3, first 2 shown]
	v_pk_add_f32 v[178:179], v[36:37], v[10:11] neg_lo:[0,1] neg_hi:[0,1]
	v_pk_add_f32 v[86:87], v[46:47], v[86:87]
	v_pk_add_f32 v[174:175], v[10:11], v[36:37]
	;; [unrolled: 1-line block ×3, first 2 shown]
	s_mov_b32 s16, 0x3f6eb680
	v_pk_add_f32 v[86:87], v[50:51], v[86:87]
	s_mov_b32 s42, 0xbf2c7751
	v_pk_add_f32 v[86:87], v[52:53], v[86:87]
	v_lshl_add_u32 v246, v58, 3, v139
	v_pk_add_f32 v[86:87], v[54:55], v[86:87]
	v_accvgpr_write_b32 a3, v59
	v_pk_add_f32 v[86:87], v[28:29], v[86:87]
	v_pk_add_f32 v[172:173], v[38:39], v[8:9] neg_lo:[0,1] neg_hi:[0,1]
	v_pk_add_f32 v[86:87], v[30:31], v[86:87]
	v_pk_add_f32 v[170:171], v[8:9], v[38:39]
	;; [unrolled: 1-line block ×3, first 2 shown]
	v_pk_add_f32 v[164:165], v[40:41], v[30:31] neg_lo:[0,1] neg_hi:[0,1]
	v_pk_add_f32 v[86:87], v[10:11], v[86:87]
	v_pk_mul_f32 v[10:11], v[180:181], s[26:27] op_sel_hi:[1,0]
	v_pk_add_f32 v[58:59], v[64:65], v[86:87]
	v_pk_add_f32 v[158:159], v[30:31], v[40:41]
	v_pk_add_f32 v[86:87], v[42:43], v[28:29] neg_lo:[0,1] neg_hi:[0,1]
	v_pk_add_f32 v[150:151], v[28:29], v[42:43]
	v_pk_fma_f32 v[28:29], v[176:177], s[16:17], v[10:11] op_sel:[0,0,1] op_sel_hi:[1,0,0]
	v_pk_fma_f32 v[8:9], v[176:177], s[16:17], v[10:11] op_sel:[0,0,1] op_sel_hi:[1,0,0] neg_lo:[0,0,1] neg_hi:[0,0,1]
	s_mov_b32 s14, 0x3f3d2fb0
	v_pk_mul_f32 v[30:31], v[178:179], s[42:43] op_sel_hi:[1,0]
	v_accvgpr_write_b32 a11, v29
	v_mov_b32_e32 v29, v9
	v_accvgpr_write_b32 a10, v8
	v_pk_fma_f32 v[36:37], v[174:175], s[14:15], v[30:31] op_sel:[0,0,1] op_sel_hi:[1,0,0]
	v_pk_fma_f32 v[8:9], v[174:175], s[14:15], v[30:31] op_sel:[0,0,1] op_sel_hi:[1,0,0] neg_lo:[0,0,1] neg_hi:[0,0,1]
	v_pk_add_f32 v[34:35], v[32:33], v[28:29]
	v_accvgpr_write_b32 a13, v37
	v_mov_b32_e32 v37, v9
	s_mov_b32 s48, 0xbf65296c
	v_pk_add_f32 v[38:39], v[36:37], v[34:35]
	s_mov_b32 s12, 0x3ee437d1
	v_pk_mul_f32 v[36:37], v[172:173], s[48:49] op_sel_hi:[1,0]
	v_accvgpr_write_b32 a12, v8
	v_pk_fma_f32 v[40:41], v[170:171], s[12:13], v[36:37] op_sel:[0,0,1] op_sel_hi:[1,0,0]
	v_pk_fma_f32 v[8:9], v[170:171], s[12:13], v[36:37] op_sel:[0,0,1] op_sel_hi:[1,0,0] neg_lo:[0,0,1] neg_hi:[0,0,1]
	v_accvgpr_write_b32 a15, v41
	v_mov_b32_e32 v41, v9
	s_mov_b32 s40, 0xbf7ee86f
	v_accvgpr_write_b32 a4, v142
	v_pk_add_f32 v[42:43], v[40:41], v[38:39]
	s_mov_b32 s10, 0x3dbcf732
	v_pk_mul_f32 v[40:41], v[164:165], s[40:41] op_sel_hi:[1,0]
	v_pk_add_f32 v[112:113], v[44:45], v[54:55] neg_lo:[0,1] neg_hi:[0,1]
	v_accvgpr_write_b32 a5, v143
	v_pk_add_f32 v[142:143], v[54:55], v[44:45]
	v_accvgpr_write_b32 a14, v8
	v_pk_fma_f32 v[44:45], v[158:159], s[10:11], v[40:41] op_sel:[0,0,1] op_sel_hi:[1,0,0]
	v_pk_fma_f32 v[8:9], v[158:159], s[10:11], v[40:41] op_sel:[0,0,1] op_sel_hi:[1,0,0] neg_lo:[0,0,1] neg_hi:[0,0,1]
	v_accvgpr_write_b32 a17, v45
	v_mov_b32_e32 v45, v9
	s_mov_b32 s20, 0xbf763a35
	v_pk_add_f32 v[152:153], v[46:47], v[52:53] neg_lo:[0,1] neg_hi:[0,1]
	v_pk_add_f32 v[134:135], v[52:53], v[46:47]
	v_pk_add_f32 v[46:47], v[44:45], v[42:43]
	s_mov_b32 s18, 0xbe8c1d8e
	v_pk_mul_f32 v[44:45], v[86:87], s[20:21] op_sel_hi:[1,0]
	v_pk_add_f32 v[84:85], v[48:49], v[50:51] neg_lo:[0,1] neg_hi:[0,1]
	v_pk_add_f32 v[126:127], v[50:51], v[48:49]
	v_accvgpr_write_b32 a16, v8
	v_pk_fma_f32 v[48:49], v[150:151], s[18:19], v[44:45] op_sel:[0,0,1] op_sel_hi:[1,0,0]
	v_pk_fma_f32 v[8:9], v[150:151], s[18:19], v[44:45] op_sel:[0,0,1] op_sel_hi:[1,0,0] neg_lo:[0,0,1] neg_hi:[0,0,1]
	v_accvgpr_write_b32 a19, v49
	v_mov_b32_e32 v49, v9
	s_mov_b32 s24, 0xbf4c4adb
	v_pk_add_f32 v[50:51], v[48:49], v[46:47]
	s_mov_b32 s22, 0xbf1a4643
	v_pk_mul_f32 v[48:49], v[112:113], s[24:25] op_sel_hi:[1,0]
	v_accvgpr_write_b32 a18, v8
	v_pk_fma_f32 v[52:53], v[142:143], s[22:23], v[48:49] op_sel:[0,0,1] op_sel_hi:[1,0,0]
	v_pk_fma_f32 v[8:9], v[142:143], s[22:23], v[48:49] op_sel:[0,0,1] op_sel_hi:[1,0,0] neg_lo:[0,0,1] neg_hi:[0,0,1]
	v_accvgpr_write_b32 a21, v53
	v_mov_b32_e32 v53, v9
	s_mov_b32 s30, 0xbf06c442
	v_pk_add_f32 v[54:55], v[52:53], v[50:51]
	s_mov_b32 s28, 0xbf59a7d5
	v_pk_mul_f32 v[52:53], v[152:153], s[30:31] op_sel_hi:[1,0]
	;; [unrolled: 9-line block ×3, first 2 shown]
	v_accvgpr_write_b32 a22, v8
	v_pk_fma_f32 v[90:91], v[126:127], s[34:35], v[64:65] op_sel:[0,0,1] op_sel_hi:[1,0,0]
	v_pk_fma_f32 v[8:9], v[126:127], s[34:35], v[64:65] op_sel:[0,0,1] op_sel_hi:[1,0,0] neg_lo:[0,0,1] neg_hi:[0,0,1]
	v_accvgpr_write_b32 a25, v91
	v_mov_b32_e32 v91, v9
	v_pk_add_f32 v[88:89], v[90:91], v[88:89]
	ds_write2_b64 v246, v[58:59], v[88:89] offset1:1
	v_pk_mul_f32 v[88:89], v[180:181], s[42:43] op_sel_hi:[1,0]
	v_accvgpr_write_b32 a24, v8
	v_pk_fma_f32 v[90:91], v[176:177], s[14:15], v[88:89] op_sel:[0,0,1] op_sel_hi:[1,0,0]
	v_pk_fma_f32 v[8:9], v[176:177], s[14:15], v[88:89] op_sel:[0,0,1] op_sel_hi:[1,0,0] neg_lo:[0,0,1] neg_hi:[0,0,1]
	v_pk_mul_f32 v[92:93], v[178:179], s[40:41] op_sel_hi:[1,0]
	v_accvgpr_write_b32 a27, v91
	v_mov_b32_e32 v91, v9
	v_pk_fma_f32 v[96:97], v[174:175], s[10:11], v[92:93] op_sel:[0,0,1] op_sel_hi:[1,0,0]
	v_pk_fma_f32 v[92:93], v[174:175], s[10:11], v[92:93] op_sel:[0,0,1] op_sel_hi:[1,0,0] neg_lo:[0,0,1] neg_hi:[0,0,1]
	v_pk_add_f32 v[94:95], v[32:33], v[90:91]
	v_accvgpr_write_b32 a29, v97
	v_mov_b32_e32 v97, v93
	v_pk_add_f32 v[98:99], v[96:97], v[94:95]
	v_pk_mul_f32 v[96:97], v[172:173], s[24:25] op_sel_hi:[1,0]
	s_mov_b32 s52, 0x3f06c442
	v_pk_fma_f32 v[100:101], v[170:171], s[22:23], v[96:97] op_sel:[0,0,1] op_sel_hi:[1,0,0]
	v_pk_fma_f32 v[96:97], v[170:171], s[22:23], v[96:97] op_sel:[0,0,1] op_sel_hi:[1,0,0] neg_lo:[0,0,1] neg_hi:[0,0,1]
	v_accvgpr_write_b32 a31, v101
	v_mov_b32_e32 v101, v97
	v_pk_add_f32 v[102:103], v[100:101], v[98:99]
	v_pk_mul_f32 v[100:101], v[164:165], s[36:37] op_sel_hi:[1,0]
	s_mov_b32 s50, 0x3f763a35
	v_pk_fma_f32 v[104:105], v[158:159], s[34:35], v[100:101] op_sel:[0,0,1] op_sel_hi:[1,0,0]
	v_pk_fma_f32 v[100:101], v[158:159], s[34:35], v[100:101] op_sel:[0,0,1] op_sel_hi:[1,0,0] neg_lo:[0,0,1] neg_hi:[0,0,1]
	v_accvgpr_write_b32 a33, v105
	v_mov_b32_e32 v105, v101
	v_pk_add_f32 v[106:107], v[104:105], v[102:103]
	v_pk_mul_f32 v[104:105], v[86:87], s[52:53] op_sel_hi:[1,0]
	v_mov_b64_e32 v[44:45], v[112:113]
	v_pk_fma_f32 v[108:109], v[150:151], s[28:29], v[104:105] op_sel:[0,0,1] op_sel_hi:[1,0,0]
	v_pk_fma_f32 v[104:105], v[150:151], s[28:29], v[104:105] op_sel:[0,0,1] op_sel_hi:[1,0,0] neg_lo:[0,0,1] neg_hi:[0,0,1]
	v_accvgpr_write_b32 a35, v109
	v_mov_b32_e32 v109, v105
	v_pk_add_f32 v[110:111], v[108:109], v[106:107]
	v_pk_mul_f32 v[108:109], v[44:45], s[50:51] op_sel_hi:[1,0]
	s_mov_b32 s38, 0x3f65296c
	v_pk_fma_f32 v[112:113], v[142:143], s[18:19], v[108:109] op_sel:[0,0,1] op_sel_hi:[1,0,0]
	v_pk_fma_f32 v[108:109], v[142:143], s[18:19], v[108:109] op_sel:[0,0,1] op_sel_hi:[1,0,0] neg_lo:[0,0,1] neg_hi:[0,0,1]
	v_accvgpr_write_b32 a37, v113
	v_mov_b32_e32 v113, v109
	v_pk_add_f32 v[114:115], v[112:113], v[110:111]
	v_pk_mul_f32 v[112:113], v[152:153], s[38:39] op_sel_hi:[1,0]
	s_mov_b32 s44, 0x3eb8f4ab
	v_pk_fma_f32 v[116:117], v[134:135], s[12:13], v[112:113] op_sel:[0,0,1] op_sel_hi:[1,0,0]
	v_pk_fma_f32 v[112:113], v[134:135], s[12:13], v[112:113] op_sel:[0,0,1] op_sel_hi:[1,0,0] neg_lo:[0,0,1] neg_hi:[0,0,1]
	v_accvgpr_write_b32 a39, v117
	v_mov_b32_e32 v117, v113
	v_pk_add_f32 v[118:119], v[116:117], v[114:115]
	v_pk_mul_f32 v[116:117], v[84:85], s[44:45] op_sel_hi:[1,0]
	v_pk_mul_f32 v[124:125], v[178:179], s[24:25] op_sel_hi:[1,0]
	v_pk_fma_f32 v[120:121], v[126:127], s[16:17], v[116:117] op_sel:[0,0,1] op_sel_hi:[1,0,0]
	v_pk_fma_f32 v[116:117], v[126:127], s[16:17], v[116:117] op_sel:[0,0,1] op_sel_hi:[1,0,0] neg_lo:[0,0,1] neg_hi:[0,0,1]
	v_accvgpr_write_b32 a41, v121
	v_mov_b32_e32 v121, v117
	v_pk_add_f32 v[182:183], v[120:121], v[118:119]
	v_pk_mul_f32 v[120:121], v[180:181], s[48:49] op_sel_hi:[1,0]
	s_mov_b32 s46, 0x3e3c28d5
	v_pk_fma_f32 v[122:123], v[176:177], s[12:13], v[120:121] op_sel:[0,0,1] op_sel_hi:[1,0,0]
	v_pk_fma_f32 v[120:121], v[176:177], s[12:13], v[120:121] op_sel:[0,0,1] op_sel_hi:[1,0,0] neg_lo:[0,0,1] neg_hi:[0,0,1]
	v_mov_b32_e32 v97, v123
	v_mov_b32_e32 v123, v121
	v_pk_add_f32 v[130:131], v[32:33], v[122:123]
	v_pk_fma_f32 v[122:123], v[174:175], s[22:23], v[124:125] op_sel:[0,0,1] op_sel_hi:[1,0,0]
	v_pk_fma_f32 v[124:125], v[174:175], s[22:23], v[124:125] op_sel:[0,0,1] op_sel_hi:[1,0,0] neg_lo:[0,0,1] neg_hi:[0,0,1]
	v_mov_b32_e32 v132, v122
	v_mov_b32_e32 v133, v125
	v_accvgpr_write_b32 a2, v138
	v_pk_add_f32 v[138:139], v[132:133], v[130:131]
	v_pk_mul_f32 v[132:133], v[172:173], s[46:47] op_sel_hi:[1,0]
	v_accvgpr_write_b32 a26, v8
	v_pk_fma_f32 v[8:9], v[170:171], s[34:35], v[132:133] op_sel:[0,0,1] op_sel_hi:[1,0,0]
	v_pk_fma_f32 v[132:133], v[170:171], s[34:35], v[132:133] op_sel:[0,0,1] op_sel_hi:[1,0,0] neg_lo:[0,0,1] neg_hi:[0,0,1]
	v_mov_b32_e32 v93, v140
	v_mov_b32_e32 v140, v8
	;; [unrolled: 1-line block ×3, first 2 shown]
	v_pk_add_f32 v[146:147], v[140:141], v[138:139]
	v_pk_mul_f32 v[140:141], v[164:165], s[50:51] op_sel_hi:[1,0]
	s_mov_b32 s46, 0x3f2c7751
	v_pk_fma_f32 v[138:139], v[158:159], s[18:19], v[140:141] op_sel:[0,0,1] op_sel_hi:[1,0,0]
	v_pk_fma_f32 v[140:141], v[158:159], s[18:19], v[140:141] op_sel:[0,0,1] op_sel_hi:[1,0,0] neg_lo:[0,0,1] neg_hi:[0,0,1]
	v_mov_b32_e32 v148, v138
	v_mov_b32_e32 v149, v141
	v_pk_add_f32 v[154:155], v[148:149], v[146:147]
	v_pk_mul_f32 v[148:149], v[86:87], s[46:47] op_sel_hi:[1,0]
	v_pk_mul_f32 v[188:189], v[178:179], s[36:37] op_sel_hi:[1,0]
	v_pk_fma_f32 v[146:147], v[150:151], s[14:15], v[148:149] op_sel:[0,0,1] op_sel_hi:[1,0,0]
	v_pk_fma_f32 v[148:149], v[150:151], s[14:15], v[148:149] op_sel:[0,0,1] op_sel_hi:[1,0,0] neg_lo:[0,0,1] neg_hi:[0,0,1]
	v_mov_b32_e32 v156, v146
	v_mov_b32_e32 v157, v149
	v_pk_add_f32 v[160:161], v[156:157], v[154:155]
	v_pk_mul_f32 v[156:157], v[44:45], s[26:27] op_sel_hi:[1,0]
	s_mov_b32 s54, 0x3f4c4adb
	v_pk_fma_f32 v[154:155], v[142:143], s[16:17], v[156:157] op_sel:[0,0,1] op_sel_hi:[1,0,0]
	v_pk_fma_f32 v[156:157], v[142:143], s[16:17], v[156:157] op_sel:[0,0,1] op_sel_hi:[1,0,0] neg_lo:[0,0,1] neg_hi:[0,0,1]
	v_mov_b32_e32 v162, v154
	v_mov_b32_e32 v163, v157
	v_pk_add_f32 v[166:167], v[162:163], v[160:161]
	v_pk_mul_f32 v[162:163], v[152:153], s[40:41] op_sel_hi:[1,0]
	v_mov_b32_e32 v122, v248
	v_pk_fma_f32 v[160:161], v[134:135], s[10:11], v[162:163] op_sel:[0,0,1] op_sel_hi:[1,0,0]
	v_pk_fma_f32 v[162:163], v[134:135], s[10:11], v[162:163] op_sel:[0,0,1] op_sel_hi:[1,0,0] neg_lo:[0,0,1] neg_hi:[0,0,1]
	v_mov_b32_e32 v168, v160
	v_mov_b32_e32 v169, v163
	v_pk_add_f32 v[184:185], v[168:169], v[166:167]
	v_pk_mul_f32 v[168:169], v[84:85], s[30:31] op_sel_hi:[1,0]
	v_pk_mul_f32 v[220:221], v[178:179], s[52:53] op_sel_hi:[1,0]
	v_pk_fma_f32 v[166:167], v[126:127], s[28:29], v[168:169] op_sel:[0,0,1] op_sel_hi:[1,0,0]
	v_pk_fma_f32 v[168:169], v[126:127], s[28:29], v[168:169] op_sel:[0,0,1] op_sel_hi:[1,0,0] neg_lo:[0,0,1] neg_hi:[0,0,1]
	v_mov_b32_e32 v186, v166
	v_mov_b32_e32 v187, v169
	v_pk_add_f32 v[184:185], v[186:187], v[184:185]
	ds_write2_b64 v246, v[182:183], v[184:185] offset0:2 offset1:3
	v_pk_mul_f32 v[184:185], v[180:181], s[40:41] op_sel_hi:[1,0]
	v_pk_mul_f32 v[58:59], v[178:179], s[50:51] op_sel_hi:[1,0]
	v_pk_fma_f32 v[182:183], v[176:177], s[10:11], v[184:185] op_sel:[0,0,1] op_sel_hi:[1,0,0]
	v_pk_fma_f32 v[184:185], v[176:177], s[10:11], v[184:185] op_sel:[0,0,1] op_sel_hi:[1,0,0] neg_lo:[0,0,1] neg_hi:[0,0,1]
	v_mov_b32_e32 v186, v182
	v_mov_b32_e32 v187, v185
	v_pk_add_f32 v[190:191], v[32:33], v[186:187]
	v_pk_fma_f32 v[186:187], v[174:175], s[34:35], v[188:189] op_sel:[0,0,1] op_sel_hi:[1,0,0]
	v_pk_fma_f32 v[188:189], v[174:175], s[34:35], v[188:189] op_sel:[0,0,1] op_sel_hi:[1,0,0] neg_lo:[0,0,1] neg_hi:[0,0,1]
	v_mov_b32_e32 v192, v186
	v_mov_b32_e32 v193, v189
	v_pk_add_f32 v[194:195], v[192:193], v[190:191]
	v_pk_mul_f32 v[192:193], v[172:173], s[50:51] op_sel_hi:[1,0]
	v_pk_fma_f32 v[118:119], v[174:175], s[18:19], v[58:59] op_sel:[0,0,1] op_sel_hi:[1,0,0]
	v_pk_fma_f32 v[190:191], v[170:171], s[18:19], v[192:193] op_sel:[0,0,1] op_sel_hi:[1,0,0]
	v_pk_fma_f32 v[192:193], v[170:171], s[18:19], v[192:193] op_sel:[0,0,1] op_sel_hi:[1,0,0] neg_lo:[0,0,1] neg_hi:[0,0,1]
	v_mov_b32_e32 v196, v190
	v_mov_b32_e32 v197, v193
	v_pk_add_f32 v[198:199], v[196:197], v[194:195]
	v_pk_mul_f32 v[196:197], v[164:165], s[44:45] op_sel_hi:[1,0]
	v_pk_fma_f32 v[58:59], v[174:175], s[18:19], v[58:59] op_sel:[0,0,1] op_sel_hi:[1,0,0] neg_lo:[0,0,1] neg_hi:[0,0,1]
	v_pk_fma_f32 v[194:195], v[158:159], s[16:17], v[196:197] op_sel:[0,0,1] op_sel_hi:[1,0,0]
	v_pk_fma_f32 v[196:197], v[158:159], s[16:17], v[196:197] op_sel:[0,0,1] op_sel_hi:[1,0,0] neg_lo:[0,0,1] neg_hi:[0,0,1]
	v_mov_b32_e32 v200, v194
	v_mov_b32_e32 v201, v197
	v_pk_add_f32 v[202:203], v[200:201], v[198:199]
	v_pk_mul_f32 v[200:201], v[86:87], s[48:49] op_sel_hi:[1,0]
	v_mov_b32_e32 v101, v9
	v_pk_fma_f32 v[198:199], v[150:151], s[12:13], v[200:201] op_sel:[0,0,1] op_sel_hi:[1,0,0]
	v_pk_fma_f32 v[200:201], v[150:151], s[12:13], v[200:201] op_sel:[0,0,1] op_sel_hi:[1,0,0] neg_lo:[0,0,1] neg_hi:[0,0,1]
	v_mov_b32_e32 v204, v198
	v_mov_b32_e32 v205, v201
	v_pk_add_f32 v[206:207], v[204:205], v[202:203]
	v_pk_mul_f32 v[204:205], v[44:45], s[30:31] op_sel_hi:[1,0]
	v_mov_b32_e32 v8, v118
	;; [unrolled: 7-line block ×3, first 2 shown]
	v_pk_fma_f32 v[206:207], v[134:135], s[22:23], v[208:209] op_sel:[0,0,1] op_sel_hi:[1,0,0]
	v_pk_fma_f32 v[208:209], v[134:135], s[22:23], v[208:209] op_sel:[0,0,1] op_sel_hi:[1,0,0] neg_lo:[0,0,1] neg_hi:[0,0,1]
	v_mov_b32_e32 v212, v206
	v_mov_b32_e32 v213, v209
	v_pk_add_f32 v[214:215], v[212:213], v[210:211]
	v_pk_mul_f32 v[212:213], v[84:85], s[46:47] op_sel_hi:[1,0]
	v_accvgpr_write_b32 a6, v62
	v_pk_fma_f32 v[210:211], v[126:127], s[14:15], v[212:213] op_sel:[0,0,1] op_sel_hi:[1,0,0]
	v_pk_fma_f32 v[212:213], v[126:127], s[14:15], v[212:213] op_sel:[0,0,1] op_sel_hi:[1,0,0] neg_lo:[0,0,1] neg_hi:[0,0,1]
	v_mov_b32_e32 v216, v210
	v_mov_b32_e32 v217, v213
	v_pk_add_f32 v[248:249], v[216:217], v[214:215]
	v_pk_mul_f32 v[216:217], v[180:181], s[20:21] op_sel_hi:[1,0]
	v_accvgpr_write_b32 a7, v63
	v_pk_fma_f32 v[214:215], v[176:177], s[18:19], v[216:217] op_sel:[0,0,1] op_sel_hi:[1,0,0]
	v_pk_fma_f32 v[216:217], v[176:177], s[18:19], v[216:217] op_sel:[0,0,1] op_sel_hi:[1,0,0] neg_lo:[0,0,1] neg_hi:[0,0,1]
	v_mov_b32_e32 v218, v214
	v_mov_b32_e32 v219, v217
	v_pk_add_f32 v[222:223], v[32:33], v[218:219]
	v_pk_fma_f32 v[218:219], v[174:175], s[28:29], v[220:221] op_sel:[0,0,1] op_sel_hi:[1,0,0]
	v_pk_fma_f32 v[220:221], v[174:175], s[28:29], v[220:221] op_sel:[0,0,1] op_sel_hi:[1,0,0] neg_lo:[0,0,1] neg_hi:[0,0,1]
	v_mov_b32_e32 v224, v218
	v_mov_b32_e32 v225, v221
	v_pk_add_f32 v[226:227], v[224:225], v[222:223]
	v_pk_mul_f32 v[224:225], v[172:173], s[46:47] op_sel_hi:[1,0]
	v_pk_mul_f32 v[62:63], v[178:179], s[38:39] op_sel_hi:[1,0]
	v_pk_fma_f32 v[222:223], v[170:171], s[14:15], v[224:225] op_sel:[0,0,1] op_sel_hi:[1,0,0]
	v_pk_fma_f32 v[224:225], v[170:171], s[14:15], v[224:225] op_sel:[0,0,1] op_sel_hi:[1,0,0] neg_lo:[0,0,1] neg_hi:[0,0,1]
	v_mov_b32_e32 v228, v222
	v_mov_b32_e32 v229, v225
	v_pk_add_f32 v[230:231], v[228:229], v[226:227]
	v_pk_mul_f32 v[228:229], v[164:165], s[48:49] op_sel_hi:[1,0]
	s_mov_b32 s48, 0x3f7ee86f
	v_pk_fma_f32 v[226:227], v[158:159], s[12:13], v[228:229] op_sel:[0,0,1] op_sel_hi:[1,0,0]
	v_pk_fma_f32 v[228:229], v[158:159], s[12:13], v[228:229] op_sel:[0,0,1] op_sel_hi:[1,0,0] neg_lo:[0,0,1] neg_hi:[0,0,1]
	v_mov_b32_e32 v232, v226
	v_mov_b32_e32 v233, v229
	v_pk_add_f32 v[234:235], v[232:233], v[230:231]
	v_pk_mul_f32 v[232:233], v[86:87], s[36:37] op_sel_hi:[1,0]
	v_pk_mul_f32 v[252:253], v[172:173], s[40:41] op_sel_hi:[1,0]
	v_pk_fma_f32 v[230:231], v[150:151], s[34:35], v[232:233] op_sel:[0,0,1] op_sel_hi:[1,0,0]
	v_pk_fma_f32 v[232:233], v[150:151], s[34:35], v[232:233] op_sel:[0,0,1] op_sel_hi:[1,0,0] neg_lo:[0,0,1] neg_hi:[0,0,1]
	v_mov_b32_e32 v236, v230
	v_mov_b32_e32 v237, v233
	v_pk_add_f32 v[238:239], v[236:237], v[234:235]
	v_pk_mul_f32 v[236:237], v[44:45], s[48:49] op_sel_hi:[1,0]
	v_pk_fma_f32 v[88:89], v[174:175], s[12:13], v[62:63] op_sel:[0,0,1] op_sel_hi:[1,0,0]
	v_pk_fma_f32 v[234:235], v[142:143], s[10:11], v[236:237] op_sel:[0,0,1] op_sel_hi:[1,0,0]
	v_pk_fma_f32 v[236:237], v[142:143], s[10:11], v[236:237] op_sel:[0,0,1] op_sel_hi:[1,0,0] neg_lo:[0,0,1] neg_hi:[0,0,1]
	v_mov_b32_e32 v240, v234
	v_mov_b32_e32 v241, v237
	v_pk_add_f32 v[242:243], v[240:241], v[238:239]
	v_pk_mul_f32 v[240:241], v[152:153], s[26:27] op_sel_hi:[1,0]
	v_pk_fma_f32 v[62:63], v[174:175], s[12:13], v[62:63] op_sel:[0,0,1] op_sel_hi:[1,0,0] neg_lo:[0,0,1] neg_hi:[0,0,1]
	v_pk_fma_f32 v[238:239], v[134:135], s[16:17], v[240:241] op_sel:[0,0,1] op_sel_hi:[1,0,0]
	v_pk_fma_f32 v[240:241], v[134:135], s[16:17], v[240:241] op_sel:[0,0,1] op_sel_hi:[1,0,0] neg_lo:[0,0,1] neg_hi:[0,0,1]
	v_mov_b32_e32 v244, v238
	v_mov_b32_e32 v245, v241
	v_pk_add_f32 v[254:255], v[244:245], v[242:243]
	v_pk_mul_f32 v[244:245], v[84:85], s[24:25] op_sel_hi:[1,0]
	v_mov_b32_e32 v30, v88
	v_pk_fma_f32 v[130:131], v[126:127], s[22:23], v[244:245] op_sel:[0,0,1] op_sel_hi:[1,0,0]
	v_pk_fma_f32 v[244:245], v[126:127], s[22:23], v[244:245] op_sel:[0,0,1] op_sel_hi:[1,0,0] neg_lo:[0,0,1] neg_hi:[0,0,1]
	v_mov_b32_e32 v242, v130
	v_mov_b32_e32 v243, v245
	v_pk_add_f32 v[242:243], v[242:243], v[254:255]
	ds_write2_b64 v246, v[248:249], v[242:243] offset0:4 offset1:5
	v_pk_mul_f32 v[242:243], v[180:181], s[24:25] op_sel_hi:[1,0]
	v_mov_b32_e32 v31, v63
	v_pk_fma_f32 v[248:249], v[176:177], s[22:23], v[242:243] op_sel:[0,0,1] op_sel_hi:[1,0,0]
	v_pk_fma_f32 v[242:243], v[176:177], s[22:23], v[242:243] op_sel:[0,0,1] op_sel_hi:[1,0,0] neg_lo:[0,0,1] neg_hi:[0,0,1]
	v_mov_b32_e32 v254, v248
	v_mov_b32_e32 v255, v243
	v_pk_add_f32 v[254:255], v[32:33], v[254:255]
	v_pk_fma_f32 v[64:65], v[170:171], s[10:11], v[252:253] op_sel:[0,0,1] op_sel_hi:[1,0,0]
	v_pk_add_f32 v[8:9], v[8:9], v[254:255]
	v_pk_mul_f32 v[254:255], v[172:173], s[26:27] op_sel_hi:[1,0]
	v_pk_fma_f32 v[252:253], v[170:171], s[10:11], v[252:253] op_sel:[0,0,1] op_sel_hi:[1,0,0] neg_lo:[0,0,1] neg_hi:[0,0,1]
	v_pk_fma_f32 v[114:115], v[170:171], s[16:17], v[254:255] op_sel:[0,0,1] op_sel_hi:[1,0,0]
	v_pk_fma_f32 v[254:255], v[170:171], s[16:17], v[254:255] op_sel:[0,0,1] op_sel_hi:[1,0,0] neg_lo:[0,0,1] neg_hi:[0,0,1]
	v_mov_b32_e32 v28, v114
	v_mov_b32_e32 v29, v255
	v_pk_add_f32 v[8:9], v[28:29], v[8:9]
	v_pk_mul_f32 v[28:29], v[164:165], s[30:31] op_sel_hi:[1,0]
	v_accvgpr_write_b32 a8, v80
	v_pk_fma_f32 v[110:111], v[158:159], s[28:29], v[28:29] op_sel:[0,0,1] op_sel_hi:[1,0,0]
	v_pk_fma_f32 v[28:29], v[158:159], s[28:29], v[28:29] op_sel:[0,0,1] op_sel_hi:[1,0,0] neg_lo:[0,0,1] neg_hi:[0,0,1]
	v_mov_b32_e32 v34, v110
	v_mov_b32_e32 v35, v29
	v_pk_add_f32 v[8:9], v[34:35], v[8:9]
	v_pk_mul_f32 v[34:35], v[86:87], s[48:49] op_sel_hi:[1,0]
	v_mov_b32_e32 v29, v250
	v_pk_fma_f32 v[106:107], v[150:151], s[10:11], v[34:35] op_sel:[0,0,1] op_sel_hi:[1,0,0]
	v_pk_fma_f32 v[34:35], v[150:151], s[10:11], v[34:35] op_sel:[0,0,1] op_sel_hi:[1,0,0] neg_lo:[0,0,1] neg_hi:[0,0,1]
	v_mov_b32_e32 v38, v106
	v_mov_b32_e32 v39, v35
	v_pk_add_f32 v[8:9], v[38:39], v[8:9]
	v_pk_mul_f32 v[38:39], v[44:45], s[42:43] op_sel_hi:[1,0]
	v_pk_mul_f32 v[250:251], v[164:165], s[54:55] op_sel_hi:[1,0]
	v_pk_fma_f32 v[102:103], v[142:143], s[14:15], v[38:39] op_sel:[0,0,1] op_sel_hi:[1,0,0]
	v_pk_fma_f32 v[38:39], v[142:143], s[14:15], v[38:39] op_sel:[0,0,1] op_sel_hi:[1,0,0] neg_lo:[0,0,1] neg_hi:[0,0,1]
	v_mov_b32_e32 v42, v102
	v_mov_b32_e32 v43, v39
	v_pk_add_f32 v[8:9], v[42:43], v[8:9]
	v_pk_mul_f32 v[42:43], v[152:153], s[36:37] op_sel_hi:[1,0]
	v_pk_fma_f32 v[54:55], v[158:159], s[22:23], v[250:251] op_sel:[0,0,1] op_sel_hi:[1,0,0]
	v_pk_fma_f32 v[98:99], v[134:135], s[34:35], v[42:43] op_sel:[0,0,1] op_sel_hi:[1,0,0]
	v_pk_fma_f32 v[42:43], v[134:135], s[34:35], v[42:43] op_sel:[0,0,1] op_sel_hi:[1,0,0] neg_lo:[0,0,1] neg_hi:[0,0,1]
	v_mov_b32_e32 v46, v98
	v_mov_b32_e32 v47, v43
	v_pk_add_f32 v[8:9], v[46:47], v[8:9]
	v_pk_mul_f32 v[46:47], v[84:85], s[38:39] op_sel_hi:[1,0]
	v_pk_fma_f32 v[250:251], v[158:159], s[22:23], v[250:251] op_sel:[0,0,1] op_sel_hi:[1,0,0] neg_lo:[0,0,1] neg_hi:[0,0,1]
	v_pk_fma_f32 v[94:95], v[126:127], s[12:13], v[46:47] op_sel:[0,0,1] op_sel_hi:[1,0,0]
	v_pk_fma_f32 v[46:47], v[126:127], s[12:13], v[46:47] op_sel:[0,0,1] op_sel_hi:[1,0,0] neg_lo:[0,0,1] neg_hi:[0,0,1]
	v_mov_b32_e32 v50, v94
	v_mov_b32_e32 v51, v47
	v_pk_add_f32 v[8:9], v[50:51], v[8:9]
	v_pk_mul_f32 v[50:51], v[180:181], s[30:31] op_sel_hi:[1,0]
	v_accvgpr_write_b32 a9, v81
	v_pk_fma_f32 v[90:91], v[176:177], s[28:29], v[50:51] op_sel:[0,0,1] op_sel_hi:[1,0,0]
	v_pk_fma_f32 v[50:51], v[176:177], s[28:29], v[50:51] op_sel:[0,0,1] op_sel_hi:[1,0,0] neg_lo:[0,0,1] neg_hi:[0,0,1]
	v_mov_b32_e32 v10, v90
	v_mov_b32_e32 v11, v51
	v_pk_add_f32 v[10:11], v[32:33], v[10:11]
	v_pk_mul_f32 v[172:173], v[172:173], s[30:31] op_sel_hi:[1,0]
	v_pk_add_f32 v[10:11], v[30:31], v[10:11]
	v_mov_b32_e32 v30, v64
	v_mov_b32_e32 v31, v253
	v_pk_add_f32 v[10:11], v[30:31], v[10:11]
	v_mov_b32_e32 v30, v54
	v_mov_b32_e32 v31, v251
	v_pk_add_f32 v[10:11], v[30:31], v[10:11]
	v_pk_mul_f32 v[30:31], v[86:87], s[26:27] op_sel_hi:[1,0]
	v_pk_mul_f32 v[164:165], v[164:165], s[46:47] op_sel_hi:[1,0]
	v_pk_fma_f32 v[52:53], v[150:151], s[16:17], v[30:31] op_sel:[0,0,1] op_sel_hi:[1,0,0]
	v_pk_fma_f32 v[30:31], v[150:151], s[16:17], v[30:31] op_sel:[0,0,1] op_sel_hi:[1,0,0] neg_lo:[0,0,1] neg_hi:[0,0,1]
	v_mov_b32_e32 v36, v52
	v_mov_b32_e32 v37, v31
	v_pk_add_f32 v[10:11], v[36:37], v[10:11]
	v_pk_mul_f32 v[36:37], v[44:45], s[36:37] op_sel_hi:[1,0]
	v_pk_mul_f32 v[86:87], v[86:87], s[24:25] op_sel_hi:[1,0]
	v_pk_fma_f32 v[48:49], v[142:143], s[34:35], v[36:37] op_sel:[0,0,1] op_sel_hi:[1,0,0]
	v_pk_fma_f32 v[36:37], v[142:143], s[34:35], v[36:37] op_sel:[0,0,1] op_sel_hi:[1,0,0] neg_lo:[0,0,1] neg_hi:[0,0,1]
	v_mov_b32_e32 v40, v48
	v_mov_b32_e32 v41, v37
	v_pk_add_f32 v[10:11], v[40:41], v[10:11]
	v_pk_mul_f32 v[40:41], v[152:153], s[46:47] op_sel_hi:[1,0]
	v_mov_b32_e32 v51, v91
	v_pk_fma_f32 v[128:129], v[134:135], s[14:15], v[40:41] op_sel:[0,0,1] op_sel_hi:[1,0,0]
	v_pk_fma_f32 v[40:41], v[134:135], s[14:15], v[40:41] op_sel:[0,0,1] op_sel_hi:[1,0,0] neg_lo:[0,0,1] neg_hi:[0,0,1]
	v_mov_b32_e32 v80, v128
	v_mov_b32_e32 v81, v41
	v_pk_add_f32 v[10:11], v[80:81], v[10:11]
	v_pk_mul_f32 v[80:81], v[84:85], s[20:21] op_sel_hi:[1,0]
	v_mov_b32_e32 v63, v89
	v_pk_fma_f32 v[144:145], v[126:127], s[18:19], v[80:81] op_sel:[0,0,1] op_sel_hi:[1,0,0]
	v_pk_fma_f32 v[80:81], v[126:127], s[18:19], v[80:81] op_sel:[0,0,1] op_sel_hi:[1,0,0] neg_lo:[0,0,1] neg_hi:[0,0,1]
	v_mov_b32_e32 v136, v144
	v_mov_b32_e32 v137, v81
	v_pk_add_f32 v[10:11], v[136:137], v[10:11]
	ds_write2_b64 v246, v[8:9], v[10:11] offset0:6 offset1:7
	v_pk_mul_f32 v[8:9], v[180:181], s[36:37] op_sel_hi:[1,0]
	v_pk_mul_f32 v[136:137], v[178:179], s[44:45] op_sel_hi:[1,0]
	v_pk_fma_f32 v[10:11], v[176:177], s[34:35], v[8:9] op_sel:[0,0,1] op_sel_hi:[1,0,0]
	v_pk_fma_f32 v[8:9], v[176:177], s[34:35], v[8:9] op_sel:[0,0,1] op_sel_hi:[1,0,0] neg_lo:[0,0,1] neg_hi:[0,0,1]
	v_pk_fma_f32 v[176:177], v[174:175], s[16:17], v[136:137] op_sel:[0,0,1] op_sel_hi:[1,0,0]
	v_pk_fma_f32 v[136:137], v[174:175], s[16:17], v[136:137] op_sel:[0,0,1] op_sel_hi:[1,0,0] neg_lo:[0,0,1] neg_hi:[0,0,1]
	v_mov_b32_e32 v174, v10
	v_mov_b32_e32 v175, v9
	v_pk_add_f32 v[174:175], v[32:33], v[174:175]
	v_mov_b32_e32 v178, v176
	v_mov_b32_e32 v179, v137
	v_pk_add_f32 v[174:175], v[178:179], v[174:175]
	v_pk_fma_f32 v[178:179], v[170:171], s[28:29], v[172:173] op_sel:[0,0,1] op_sel_hi:[1,0,0]
	v_pk_fma_f32 v[170:171], v[170:171], s[28:29], v[172:173] op_sel:[0,0,1] op_sel_hi:[1,0,0] neg_lo:[0,0,1] neg_hi:[0,0,1]
	v_mov_b32_e32 v172, v178
	v_mov_b32_e32 v173, v171
	v_pk_add_f32 v[172:173], v[172:173], v[174:175]
	v_pk_fma_f32 v[174:175], v[158:159], s[14:15], v[164:165] op_sel:[0,0,1] op_sel_hi:[1,0,0]
	v_pk_fma_f32 v[158:159], v[158:159], s[14:15], v[164:165] op_sel:[0,0,1] op_sel_hi:[1,0,0] neg_lo:[0,0,1] neg_hi:[0,0,1]
	;; [unrolled: 5-line block ×3, first 2 shown]
	v_mov_b32_e32 v150, v172
	v_mov_b32_e32 v151, v87
	v_pk_add_f32 v[150:151], v[150:151], v[164:165]
	v_pk_mul_f32 v[164:165], v[44:45], s[38:39] op_sel_hi:[1,0]
	v_mov_b32_e32 v9, v11
	v_pk_fma_f32 v[180:181], v[142:143], s[12:13], v[164:165] op_sel:[0,0,1] op_sel_hi:[1,0,0]
	v_pk_fma_f32 v[142:143], v[142:143], s[12:13], v[164:165] op_sel:[0,0,1] op_sel_hi:[1,0,0] neg_lo:[0,0,1] neg_hi:[0,0,1]
	v_mov_b32_e32 v164, v180
	v_mov_b32_e32 v165, v143
	;; [unrolled: 1-line block ×3, first 2 shown]
	v_pk_add_f32 v[8:9], v[32:33], v[8:9]
	v_pk_add_f32 v[150:151], v[164:165], v[150:151]
	v_pk_mul_f32 v[164:165], v[152:153], s[20:21] op_sel_hi:[1,0]
	v_pk_add_f32 v[8:9], v[136:137], v[8:9]
	v_mov_b32_e32 v171, v179
	v_pk_fma_f32 v[152:153], v[134:135], s[18:19], v[164:165] op_sel:[0,0,1] op_sel_hi:[1,0,0]
	v_pk_fma_f32 v[134:135], v[134:135], s[18:19], v[164:165] op_sel:[0,0,1] op_sel_hi:[1,0,0] neg_lo:[0,0,1] neg_hi:[0,0,1]
	v_pk_add_f32 v[8:9], v[170:171], v[8:9]
	v_mov_b32_e32 v159, v175
	v_mov_b32_e32 v164, v152
	;; [unrolled: 1-line block ×3, first 2 shown]
	v_pk_add_f32 v[8:9], v[158:159], v[8:9]
	v_mov_b32_e32 v87, v173
	v_pk_add_f32 v[150:151], v[164:165], v[150:151]
	v_pk_mul_f32 v[164:165], v[84:85], s[48:49] op_sel_hi:[1,0]
	v_pk_add_f32 v[8:9], v[86:87], v[8:9]
	v_mov_b32_e32 v143, v181
	v_pk_fma_f32 v[84:85], v[126:127], s[10:11], v[164:165] op_sel:[0,0,1] op_sel_hi:[1,0,0]
	v_pk_fma_f32 v[126:127], v[126:127], s[10:11], v[164:165] op_sel:[0,0,1] op_sel_hi:[1,0,0] neg_lo:[0,0,1] neg_hi:[0,0,1]
	v_pk_add_f32 v[8:9], v[142:143], v[8:9]
	v_mov_b32_e32 v135, v153
	v_mov_b32_e32 v164, v84
	;; [unrolled: 1-line block ×3, first 2 shown]
	v_pk_add_f32 v[8:9], v[134:135], v[8:9]
	v_mov_b32_e32 v127, v85
	v_pk_add_f32 v[150:151], v[164:165], v[150:151]
	v_pk_add_f32 v[8:9], v[126:127], v[8:9]
	ds_write2_b64 v246, v[150:151], v[8:9] offset0:8 offset1:9
	v_pk_add_f32 v[8:9], v[32:33], v[50:51]
	v_mov_b32_e32 v243, v249
	v_pk_add_f32 v[8:9], v[62:63], v[8:9]
	v_mov_b32_e32 v253, v65
	;; [unrolled: 2-line block ×7, first 2 shown]
	v_mov_b32_e32 v31, v53
	v_pk_add_f32 v[10:11], v[28:29], v[10:11]
	v_mov_b32_e32 v35, v107
	v_pk_add_f32 v[8:9], v[30:31], v[8:9]
	;; [unrolled: 2-line block ×8, first 2 shown]
	v_pk_add_f32 v[10:11], v[46:47], v[10:11]
	v_mov_b32_e32 v217, v215
	v_mov_b32_e32 v185, v183
	ds_write2_b64 v246, v[8:9], v[10:11] offset0:10 offset1:11
	v_pk_add_f32 v[8:9], v[32:33], v[216:217]
	v_mov_b32_e32 v221, v219
	v_pk_add_f32 v[10:11], v[32:33], v[184:185]
	v_mov_b32_e32 v189, v187
	;; [unrolled: 2-line block ×14, first 2 shown]
	v_pk_add_f32 v[8:9], v[244:245], v[8:9]
	v_pk_add_f32 v[10:11], v[212:213], v[10:11]
	v_mov_b32_e32 v121, v97
	ds_write2_b64 v246, v[8:9], v[10:11] offset0:12 offset1:13
	v_pk_add_f32 v[8:9], v[32:33], v[120:121]
	v_mov_b32_e32 v125, v123
	v_pk_add_f32 v[8:9], v[124:125], v[8:9]
	v_mov_b32_e32 v133, v101
	v_pk_add_f32 v[8:9], v[132:133], v[8:9]
	v_mov_b32_e32 v141, v139
	v_accvgpr_read_b32 v10, a26
	v_accvgpr_read_b32 v11, a27
	v_pk_add_f32 v[8:9], v[140:141], v[8:9]
	v_mov_b32_e32 v140, v93
	v_pk_add_f32 v[10:11], v[32:33], v[10:11]
	v_accvgpr_read_b32 v93, a29
	v_pk_add_f32 v[10:11], v[92:93], v[10:11]
	v_accvgpr_read_b32 v97, a31
	;; [unrolled: 2-line block ×3, first 2 shown]
	v_mov_b32_e32 v149, v147
	v_pk_add_f32 v[10:11], v[100:101], v[10:11]
	v_accvgpr_read_b32 v105, a35
	v_pk_add_f32 v[8:9], v[148:149], v[8:9]
	v_mov_b32_e32 v157, v155
	v_pk_add_f32 v[10:11], v[104:105], v[10:11]
	v_accvgpr_read_b32 v109, a37
	v_pk_add_f32 v[8:9], v[156:157], v[8:9]
	;; [unrolled: 4-line block ×4, first 2 shown]
	v_pk_add_f32 v[10:11], v[116:117], v[10:11]
	ds_write2_b64 v246, v[8:9], v[10:11] offset0:14 offset1:15
	v_accvgpr_read_b32 v8, a10
	v_accvgpr_read_b32 v9, a11
	v_pk_add_f32 v[8:9], v[32:33], v[8:9]
	v_accvgpr_read_b32 v10, a12
	v_accvgpr_read_b32 v11, a13
	v_pk_add_f32 v[8:9], v[10:11], v[8:9]
	;; [unrolled: 3-line block ×6, first 2 shown]
	v_accvgpr_read_b32 v10, a22
	v_accvgpr_read_b32 v11, a23
	;; [unrolled: 1-line block ×5, first 2 shown]
	v_pk_add_f32 v[8:9], v[10:11], v[8:9]
	v_accvgpr_read_b32 v10, a24
	v_accvgpr_read_b32 v11, a25
	v_accvgpr_read_b32 v142, a4
	v_accvgpr_read_b32 v62, a6
	v_accvgpr_read_b32 v80, a8
	v_mov_b32_e32 v248, v122
	v_accvgpr_read_b32 v59, a3
	v_accvgpr_read_b32 v58, a1
	;; [unrolled: 1-line block ×3, first 2 shown]
	v_pk_add_f32 v[8:9], v[10:11], v[8:9]
	ds_write_b64 v246, v[8:9] offset:128
.LBB0_13:
	s_or_b64 exec, exec, s[0:1]
	s_waitcnt lgkmcnt(0)
	s_barrier
	ds_read2_b64 v[8:11], v57 offset0:68 offset1:85
	ds_read2_b64 v[28:31], v57 offset0:34 offset1:51
	;; [unrolled: 1-line block ×3, first 2 shown]
	ds_read2_b64 v[36:39], v57 offset1:17
	ds_read2_b64 v[40:43], v57 offset0:102 offset1:119
	ds_read2_b64 v[44:47], v57 offset0:136 offset1:153
	s_waitcnt lgkmcnt(4)
	v_pk_mul_f32 v[48:49], v[80:81], v[30:31]
	s_waitcnt lgkmcnt(0)
	v_pk_fma_f32 v[50:51], v[82:83], v[30:31], v[48:49] op_sel:[0,0,1] op_sel_hi:[1,1,0]
	v_pk_fma_f32 v[30:31], v[82:83], v[30:31], v[48:49] op_sel:[0,0,1] op_sel_hi:[1,1,0] neg_lo:[0,0,1] neg_hi:[0,0,1]
	s_barrier
	v_mov_b32_e32 v51, v31
	v_pk_mul_f32 v[30:31], v[2:3], v[40:41]
	s_nop 0
	v_pk_fma_f32 v[48:49], v[74:75], v[40:41], v[30:31] op_sel:[0,0,1] op_sel_hi:[1,1,0]
	v_pk_fma_f32 v[30:31], v[74:75], v[40:41], v[30:31] op_sel:[0,0,1] op_sel_hi:[1,1,0] neg_lo:[0,0,1] neg_hi:[0,0,1]
	s_mov_b32 s0, 0x3f5db3d7
	v_mov_b32_e32 v49, v31
	v_pk_mul_f32 v[30:31], v[62:63], v[46:47]
	s_nop 0
	v_pk_fma_f32 v[40:41], v[78:79], v[46:47], v[30:31] op_sel:[0,0,1] op_sel_hi:[1,1,0]
	v_pk_fma_f32 v[30:31], v[78:79], v[46:47], v[30:31] op_sel:[0,0,1] op_sel_hi:[1,1,0] neg_lo:[0,0,1] neg_hi:[0,0,1]
	s_nop 0
	v_mov_b32_e32 v41, v31
	v_pk_add_f32 v[30:31], v[36:37], v[48:49] neg_lo:[0,1] neg_hi:[0,1]
	v_pk_add_f32 v[40:41], v[50:51], v[40:41] neg_lo:[0,1] neg_hi:[0,1]
	v_pk_fma_f32 v[36:37], v[36:37], 2.0, v[30:31] op_sel_hi:[1,0,1] neg_lo:[0,0,1] neg_hi:[0,0,1]
	v_pk_fma_f32 v[46:47], v[50:51], 2.0, v[40:41] op_sel_hi:[1,0,1] neg_lo:[0,0,1] neg_hi:[0,0,1]
	v_pk_add_f32 v[48:49], v[30:31], v[40:41] op_sel:[0,1] op_sel_hi:[1,0]
	v_pk_add_f32 v[40:41], v[30:31], v[40:41] op_sel:[0,1] op_sel_hi:[1,0] neg_lo:[0,1] neg_hi:[0,1]
	v_pk_mul_f32 v[50:51], v[4:5], v[10:11] op_sel_hi:[1,0]
	v_mov_b32_e32 v40, v11
	v_mov_b32_e32 v49, v41
	v_pk_fma_f32 v[40:41], v[4:5], v[40:41], v[50:51] op_sel:[0,0,1] op_sel_hi:[1,1,0] neg_lo:[0,0,1] neg_hi:[0,0,1]
	v_pk_fma_f32 v[4:5], v[4:5], v[10:11], v[50:51] op_sel:[0,1,1] op_sel_hi:[1,1,0]
	v_pk_mul_f32 v[10:11], v[142:143], v[34:35] op_sel_hi:[1,0]
	v_mov_b32_e32 v41, v5
	v_pk_mul_f32 v[4:5], v[6:7], v[44:45]
	v_pk_add_f32 v[46:47], v[36:37], v[46:47] neg_lo:[0,1] neg_hi:[0,1]
	v_pk_fma_f32 v[6:7], v[76:77], v[44:45], v[4:5] op_sel:[0,0,1] op_sel_hi:[1,1,0]
	v_pk_fma_f32 v[4:5], v[76:77], v[44:45], v[4:5] op_sel:[0,0,1] op_sel_hi:[1,1,0] neg_lo:[0,0,1] neg_hi:[0,0,1]
	v_pk_mul_f32 v[44:45], v[0:1], v[8:9] op_sel_hi:[1,0]
	v_mov_b32_e32 v4, v35
	v_mov_b32_e32 v7, v5
	v_pk_fma_f32 v[4:5], v[142:143], v[4:5], v[10:11] op_sel:[0,0,1] op_sel_hi:[1,1,0] neg_lo:[0,0,1] neg_hi:[0,0,1]
	v_pk_fma_f32 v[10:11], v[142:143], v[34:35], v[10:11] op_sel:[0,1,1] op_sel_hi:[1,1,0]
	v_pk_add_f32 v[6:7], v[28:29], v[6:7] neg_lo:[0,1] neg_hi:[0,1]
	v_mov_b32_e32 v5, v11
	v_pk_add_f32 v[4:5], v[40:41], v[4:5] neg_lo:[0,1] neg_hi:[0,1]
	v_pk_fma_f32 v[36:37], v[36:37], 2.0, v[46:47] op_sel_hi:[1,0,1] neg_lo:[0,0,1] neg_hi:[0,0,1]
	v_pk_add_f32 v[34:35], v[6:7], v[4:5] neg_lo:[0,1] neg_hi:[0,1]
	v_pk_add_f32 v[10:11], v[6:7], v[4:5]
	v_mov_b32_e32 v34, v9
	v_mov_b32_e32 v11, v35
	v_pk_fma_f32 v[34:35], v[0:1], v[34:35], v[44:45] op_sel:[0,0,1] op_sel_hi:[1,1,0] neg_lo:[0,0,1] neg_hi:[0,0,1]
	v_pk_fma_f32 v[0:1], v[0:1], v[8:9], v[44:45] op_sel:[0,1,1] op_sel_hi:[1,1,0]
	v_pk_mul_f32 v[8:9], v[60:61], v[32:33] op_sel_hi:[1,0]
	v_mov_b32_e32 v35, v1
	v_pk_mul_f32 v[0:1], v[2:3], v[42:43]
	v_pk_fma_f32 v[30:31], v[30:31], 2.0, v[48:49] op_sel_hi:[1,0,1] neg_lo:[0,0,1] neg_hi:[0,0,1]
	v_pk_fma_f32 v[2:3], v[74:75], v[42:43], v[0:1] op_sel:[0,0,1] op_sel_hi:[1,1,0]
	v_pk_fma_f32 v[0:1], v[74:75], v[42:43], v[0:1] op_sel:[0,0,1] op_sel_hi:[1,1,0] neg_lo:[0,0,1] neg_hi:[0,0,1]
	ds_write2_b64 v57, v[36:37], v[30:31] offset1:17
	ds_write2_b64 v57, v[46:47], v[48:49] offset0:34 offset1:51
	v_mov_b32_e32 v0, v33
	v_mov_b32_e32 v3, v1
	v_pk_fma_f32 v[0:1], v[60:61], v[0:1], v[8:9] op_sel:[0,0,1] op_sel_hi:[1,1,0] neg_lo:[0,0,1] neg_hi:[0,0,1]
	v_pk_fma_f32 v[8:9], v[60:61], v[32:33], v[8:9] op_sel:[0,1,1] op_sel_hi:[1,1,0]
	v_pk_add_f32 v[2:3], v[38:39], v[2:3] neg_lo:[0,1] neg_hi:[0,1]
	v_mov_b32_e32 v1, v9
	v_pk_add_f32 v[0:1], v[34:35], v[0:1] neg_lo:[0,1] neg_hi:[0,1]
	v_pk_fma_f32 v[4:5], v[40:41], 2.0, v[4:5] op_sel_hi:[1,0,1] neg_lo:[0,0,1] neg_hi:[0,0,1]
	v_pk_add_f32 v[8:9], v[2:3], v[0:1]
	v_pk_add_f32 v[32:33], v[2:3], v[0:1] neg_lo:[0,1] neg_hi:[0,1]
	v_pk_fma_f32 v[0:1], v[34:35], 2.0, v[0:1] op_sel_hi:[1,0,1] neg_lo:[0,0,1] neg_hi:[0,0,1]
	v_mov_b32_e32 v9, v33
	v_pk_fma_f32 v[30:31], v[2:3], 2.0, v[8:9] op_sel_hi:[1,0,1] neg_lo:[0,0,1] neg_hi:[0,0,1]
	v_pk_fma_f32 v[2:3], v[38:39], 2.0, v[2:3] op_sel_hi:[1,0,1] neg_lo:[0,0,1] neg_hi:[0,0,1]
	s_nop 0
	v_pk_add_f32 v[0:1], v[2:3], v[0:1] op_sel:[0,1] op_sel_hi:[1,0] neg_lo:[0,1] neg_hi:[0,1]
	s_nop 0
	v_pk_fma_f32 v[2:3], v[2:3], 2.0, v[0:1] op_sel_hi:[1,0,1] neg_lo:[0,0,1] neg_hi:[0,0,1]
	ds_write2_b64 v57, v[2:3], v[30:31] offset0:68 offset1:85
	ds_write2_b64 v57, v[0:1], v[8:9] offset0:102 offset1:119
	v_pk_fma_f32 v[2:3], v[28:29], 2.0, v[6:7] op_sel_hi:[1,0,1] neg_lo:[0,0,1] neg_hi:[0,0,1]
	v_pk_fma_f32 v[0:1], v[6:7], 2.0, v[10:11] op_sel_hi:[1,0,1] neg_lo:[0,0,1] neg_hi:[0,0,1]
	v_pk_add_f32 v[4:5], v[2:3], v[4:5] op_sel:[0,1] op_sel_hi:[1,0] neg_lo:[0,1] neg_hi:[0,1]
	s_nop 0
	v_pk_fma_f32 v[2:3], v[2:3], 2.0, v[4:5] op_sel_hi:[1,0,1] neg_lo:[0,0,1] neg_hi:[0,0,1]
	ds_write2_b64 v140, v[2:3], v[0:1] offset0:136 offset1:153
	ds_write2_b64 v140, v[4:5], v[10:11] offset0:170 offset1:187
	s_waitcnt lgkmcnt(0)
	s_barrier
	ds_read2_b64 v[0:3], v57 offset0:68 offset1:85
	ds_read2_b64 v[4:7], v57 offset1:17
	ds_read2_b64 v[8:11], v57 offset0:136 offset1:153
	s_waitcnt lgkmcnt(2)
	v_pk_mul_f32 v[24:25], v[24:25], v[0:1]
	s_nop 0
	v_pk_fma_f32 v[28:29], v[72:73], v[0:1], v[24:25] op_sel:[0,0,1] op_sel_hi:[1,1,0]
	v_pk_fma_f32 v[0:1], v[72:73], v[0:1], v[24:25] op_sel:[0,0,1] op_sel_hi:[1,1,0] neg_lo:[0,0,1] neg_hi:[0,0,1]
	s_nop 0
	v_mov_b32_e32 v29, v1
	s_waitcnt lgkmcnt(0)
	v_pk_mul_f32 v[0:1], v[26:27], v[8:9]
	s_nop 0
	v_pk_fma_f32 v[24:25], v[70:71], v[8:9], v[0:1] op_sel:[0,0,1] op_sel_hi:[1,1,0]
	v_pk_fma_f32 v[0:1], v[70:71], v[8:9], v[0:1] op_sel:[0,0,1] op_sel_hi:[1,1,0] neg_lo:[0,0,1] neg_hi:[0,0,1]
	s_nop 0
	v_mov_b32_e32 v25, v1
	v_pk_add_f32 v[0:1], v[4:5], v[28:29]
	s_nop 0
	v_pk_add_f32 v[26:27], v[0:1], v[24:25]
	v_pk_mul_f32 v[0:1], v[16:17], v[2:3] op_sel:[1,0]
	s_nop 0
	v_pk_fma_f32 v[30:31], v[16:17], v[2:3], v[0:1] op_sel:[0,0,1] op_sel_hi:[1,1,0]
	v_pk_fma_f32 v[0:1], v[16:17], v[2:3], v[0:1] op_sel:[0,0,1] op_sel_hi:[0,1,0] neg_lo:[0,0,1] neg_hi:[0,0,1]
	v_mov_b32_e32 v31, v1
	v_pk_mul_f32 v[0:1], v[18:19], v[10:11] op_sel:[1,0]
	v_pk_add_f32 v[8:9], v[6:7], v[30:31]
	v_pk_fma_f32 v[32:33], v[18:19], v[10:11], v[0:1] op_sel:[0,0,1] op_sel_hi:[1,1,0]
	v_pk_fma_f32 v[0:1], v[18:19], v[10:11], v[0:1] op_sel:[0,0,1] op_sel_hi:[0,1,0] neg_lo:[0,0,1] neg_hi:[0,0,1]
	v_mov_b32_e32 v33, v1
	ds_read2_b64 v[0:3], v57 offset0:102 offset1:119
	v_pk_add_f32 v[34:35], v[8:9], v[32:33]
	ds_read2_b64 v[8:11], v57 offset0:34 offset1:51
	ds_read2_b64 v[16:19], v57 offset0:170 offset1:187
	ds_write2_b64 v247, v[26:27], v[34:35] offset1:17
	s_waitcnt lgkmcnt(3)
	v_pk_mul_f32 v[20:21], v[20:21], v[0:1]
	s_nop 0
	v_pk_fma_f32 v[36:37], v[68:69], v[0:1], v[20:21] op_sel:[0,0,1] op_sel_hi:[1,1,0]
	v_pk_fma_f32 v[0:1], v[68:69], v[0:1], v[20:21] op_sel:[0,0,1] op_sel_hi:[1,1,0] neg_lo:[0,0,1] neg_hi:[0,0,1]
	s_nop 0
	v_mov_b32_e32 v37, v1
	s_waitcnt lgkmcnt(1)
	v_pk_mul_f32 v[0:1], v[22:23], v[16:17]
	s_nop 0
	v_pk_fma_f32 v[20:21], v[66:67], v[16:17], v[0:1] op_sel:[0,0,1] op_sel_hi:[1,1,0]
	v_pk_fma_f32 v[0:1], v[66:67], v[16:17], v[0:1] op_sel:[0,0,1] op_sel_hi:[1,1,0] neg_lo:[0,0,1] neg_hi:[0,0,1]
	v_pk_mul_f32 v[16:17], v[12:13], v[2:3] op_sel:[1,0]
	v_mov_b32_e32 v21, v1
	v_pk_fma_f32 v[22:23], v[12:13], v[2:3], v[16:17] op_sel:[0,0,1] op_sel_hi:[1,1,0]
	v_pk_fma_f32 v[2:3], v[12:13], v[2:3], v[16:17] op_sel:[0,0,1] op_sel_hi:[0,1,0] neg_lo:[0,0,1] neg_hi:[0,0,1]
	v_mov_b32_e32 v23, v3
	v_pk_mul_f32 v[2:3], v[14:15], v[18:19] op_sel:[1,0]
	v_pk_add_f32 v[0:1], v[8:9], v[36:37]
	v_pk_fma_f32 v[12:13], v[14:15], v[18:19], v[2:3] op_sel:[0,0,1] op_sel_hi:[1,1,0]
	v_pk_fma_f32 v[2:3], v[14:15], v[18:19], v[2:3] op_sel:[0,0,1] op_sel_hi:[0,1,0] neg_lo:[0,0,1] neg_hi:[0,0,1]
	v_pk_add_f32 v[14:15], v[28:29], v[24:25]
	v_pk_add_f32 v[0:1], v[0:1], v[20:21]
	v_pk_fma_f32 v[4:5], v[14:15], 0.5, v[4:5] op_sel_hi:[1,0,1] neg_lo:[1,0,0] neg_hi:[1,0,0]
	v_pk_add_f32 v[14:15], v[28:29], v[24:25] neg_lo:[0,1] neg_hi:[0,1]
	v_mov_b32_e32 v13, v3
	v_pk_mul_f32 v[14:15], v[14:15], s[0:1] op_sel_hi:[1,0]
	v_pk_add_f32 v[2:3], v[10:11], v[22:23]
	v_pk_add_f32 v[16:17], v[4:5], v[14:15] op_sel:[0,1] op_sel_hi:[1,0] neg_lo:[0,1] neg_hi:[0,1]
	v_pk_add_f32 v[4:5], v[4:5], v[14:15] op_sel:[0,1] op_sel_hi:[1,0]
	v_mov_b32_e32 v14, v16
	v_mov_b32_e32 v15, v5
	;; [unrolled: 1-line block ×3, first 2 shown]
	v_pk_add_f32 v[16:17], v[30:31], v[32:33]
	v_pk_add_f32 v[2:3], v[2:3], v[12:13]
	v_pk_fma_f32 v[6:7], v[16:17], 0.5, v[6:7] op_sel_hi:[1,0,1] neg_lo:[1,0,0] neg_hi:[1,0,0]
	v_pk_add_f32 v[16:17], v[30:31], v[32:33] neg_lo:[0,1] neg_hi:[0,1]
	s_nop 0
	v_pk_mul_f32 v[16:17], v[16:17], s[0:1] op_sel_hi:[1,0]
	s_nop 0
	v_pk_add_f32 v[18:19], v[6:7], v[16:17] op_sel:[0,1] op_sel_hi:[1,0] neg_lo:[0,1] neg_hi:[0,1]
	v_pk_add_f32 v[6:7], v[6:7], v[16:17] op_sel:[0,1] op_sel_hi:[1,0]
	v_mov_b32_e32 v16, v18
	v_mov_b32_e32 v17, v7
	v_mov_b32_e32 v7, v19
	ds_write2_b64 v247, v[14:15], v[16:17] offset0:68 offset1:85
	ds_write2_b64 v247, v[4:5], v[6:7] offset0:136 offset1:153
	ds_write_b64 v247, v[0:1] offset:272
	v_pk_add_f32 v[0:1], v[36:37], v[20:21]
	v_pk_add_f32 v[4:5], v[36:37], v[20:21] neg_lo:[0,1] neg_hi:[0,1]
	v_pk_fma_f32 v[0:1], v[0:1], 0.5, v[8:9] op_sel_hi:[1,0,1] neg_lo:[1,0,0] neg_hi:[1,0,0]
	v_pk_mul_f32 v[4:5], v[4:5], s[0:1] op_sel_hi:[1,0]
	s_nop 0
	v_pk_add_f32 v[6:7], v[0:1], v[4:5] op_sel:[0,1] op_sel_hi:[1,0] neg_lo:[0,1] neg_hi:[0,1]
	v_pk_add_f32 v[0:1], v[0:1], v[4:5] op_sel:[0,1] op_sel_hi:[1,0]
	v_mov_b32_e32 v4, v6
	v_mov_b32_e32 v5, v1
	;; [unrolled: 1-line block ×3, first 2 shown]
	ds_write2_b64 v59, v[4:5], v[0:1] offset0:68 offset1:136
	ds_write_b64 v247, v[2:3] offset:408
	v_pk_add_f32 v[0:1], v[22:23], v[12:13]
	v_pk_add_f32 v[2:3], v[22:23], v[12:13] neg_lo:[0,1] neg_hi:[0,1]
	v_pk_fma_f32 v[0:1], v[0:1], 0.5, v[10:11] op_sel_hi:[1,0,1] neg_lo:[1,0,0] neg_hi:[1,0,0]
	v_pk_mul_f32 v[2:3], v[2:3], s[0:1] op_sel_hi:[1,0]
	s_nop 0
	v_pk_add_f32 v[4:5], v[0:1], v[2:3] op_sel:[0,1] op_sel_hi:[1,0] neg_lo:[0,1] neg_hi:[0,1]
	v_pk_add_f32 v[0:1], v[0:1], v[2:3] op_sel:[0,1] op_sel_hi:[1,0]
	v_mov_b32_e32 v2, v4
	v_mov_b32_e32 v3, v1
	;; [unrolled: 1-line block ×3, first 2 shown]
	ds_write2_b64 v58, v[2:3], v[0:1] offset0:68 offset1:136
	s_waitcnt lgkmcnt(0)
	s_barrier
	s_and_b64 exec, exec, vcc
	s_cbranch_execz .LBB0_15
; %bb.14:
	global_load_dwordx2 v[2:3], v56, s[2:3]
	ds_read_b64 v[6:7], v247
	v_mad_u64_u32 v[4:5], s[0:1], s6, v138, 0
	v_mov_b32_e32 v10, v5
	v_mad_u64_u32 v[10:11], s[6:7], s7, v138, v[10:11]
	v_mov_b32_e32 v0, s8
	v_mov_b32_e32 v1, s9
	;; [unrolled: 1-line block ×3, first 2 shown]
	v_mad_u64_u32 v[8:9], s[8:9], s4, v248, 0
	v_lshl_add_u64 v[0:1], v[4:5], 3, v[0:1]
	s_mov_b32 s0, 0x14141414
	v_mov_b32_e32 v12, v9
	s_mov_b32 s1, 0x3f741414
	v_mad_u64_u32 v[12:13], s[6:7], s5, v248, v[12:13]
	v_mov_b32_e32 v9, v12
	v_lshl_add_u64 v[8:9], v[8:9], 3, v[0:1]
	v_lshl_add_u32 v12, v250, 3, v56
	v_mov_b32_e32 v13, 0x60
	s_mul_i32 s6, s5, 0x60
	v_accvgpr_read_b32 v11, a0
	v_mov_b32_e32 v14, 0xc0
	s_mul_i32 s7, s5, 0xc0
	s_waitcnt vmcnt(0) lgkmcnt(0)
	v_mul_f32_e32 v4, v7, v3
	v_mul_f32_e32 v3, v6, v3
	v_fmac_f32_e32 v4, v6, v2
	v_fma_f32 v5, v2, v7, -v3
	v_cvt_f64_f32_e32 v[2:3], v4
	v_cvt_f64_f32_e32 v[4:5], v5
	v_mul_f64 v[2:3], v[2:3], s[0:1]
	v_mul_f64 v[4:5], v[4:5], s[0:1]
	v_cvt_f32_f64_e32 v2, v[2:3]
	v_cvt_f32_f64_e32 v3, v[4:5]
	global_store_dwordx2 v[8:9], v[2:3], off
	global_load_dwordx2 v[6:7], v56, s[2:3] offset:96
	ds_read2_b64 v[2:5], v12 offset0:12 offset1:24
	v_mad_u64_u32 v[8:9], s[8:9], s4, v13, v[8:9]
	v_add_u32_e32 v9, s6, v9
	s_waitcnt vmcnt(0) lgkmcnt(0)
	v_mul_f32_e32 v10, v3, v7
	v_mul_f32_e32 v7, v2, v7
	v_fmac_f32_e32 v10, v2, v6
	v_fma_f32 v6, v6, v3, -v7
	v_cvt_f64_f32_e32 v[2:3], v10
	v_cvt_f64_f32_e32 v[6:7], v6
	v_mul_f64 v[2:3], v[2:3], s[0:1]
	v_mul_f64 v[6:7], v[6:7], s[0:1]
	v_cvt_f32_f64_e32 v2, v[2:3]
	v_cvt_f32_f64_e32 v3, v[6:7]
	global_store_dwordx2 v[8:9], v[2:3], off
	global_load_dwordx2 v[2:3], v56, s[2:3] offset:192
	v_mad_u64_u32 v[6:7], s[8:9], s4, v13, v[8:9]
	v_add_u32_e32 v7, s6, v7
	s_waitcnt vmcnt(0)
	v_mul_f32_e32 v8, v5, v3
	v_mul_f32_e32 v3, v4, v3
	v_fmac_f32_e32 v8, v4, v2
	v_fma_f32 v4, v2, v5, -v3
	v_cvt_f64_f32_e32 v[2:3], v8
	v_cvt_f64_f32_e32 v[4:5], v4
	v_mul_f64 v[2:3], v[2:3], s[0:1]
	v_mul_f64 v[4:5], v[4:5], s[0:1]
	v_cvt_f32_f64_e32 v2, v[2:3]
	v_cvt_f32_f64_e32 v3, v[4:5]
	global_store_dwordx2 v[6:7], v[2:3], off
	global_load_dwordx2 v[8:9], v56, s[2:3] offset:288
	ds_read2_b64 v[2:5], v12 offset0:36 offset1:48
	v_mad_u64_u32 v[6:7], s[8:9], s4, v13, v[6:7]
	v_add_u32_e32 v7, s6, v7
	s_waitcnt vmcnt(0) lgkmcnt(0)
	v_mul_f32_e32 v10, v3, v9
	v_mul_f32_e32 v9, v2, v9
	v_fmac_f32_e32 v10, v2, v8
	v_fma_f32 v8, v8, v3, -v9
	v_cvt_f64_f32_e32 v[2:3], v10
	v_cvt_f64_f32_e32 v[8:9], v8
	v_mul_f64 v[2:3], v[2:3], s[0:1]
	v_mul_f64 v[8:9], v[8:9], s[0:1]
	v_cvt_f32_f64_e32 v2, v[2:3]
	v_cvt_f32_f64_e32 v3, v[8:9]
	global_store_dwordx2 v[6:7], v[2:3], off
	global_load_dwordx2 v[2:3], v56, s[2:3] offset:384
	v_mad_u64_u32 v[8:9], s[8:9], s4, v11, 0
	v_mov_b32_e32 v10, v9
	v_mad_u64_u32 v[10:11], s[8:9], s5, v11, v[10:11]
	v_mov_b32_e32 v9, v10
	v_lshl_add_u64 v[8:9], v[8:9], 3, v[0:1]
	v_mad_u64_u32 v[6:7], s[8:9], s4, v14, v[6:7]
	v_add_u32_e32 v7, s7, v7
	v_or_b32_e32 v11, 0x60, v248
	s_waitcnt vmcnt(0)
	v_mul_f32_e32 v10, v5, v3
	v_mul_f32_e32 v3, v4, v3
	v_fmac_f32_e32 v10, v4, v2
	v_fma_f32 v4, v2, v5, -v3
	v_cvt_f64_f32_e32 v[2:3], v10
	v_cvt_f64_f32_e32 v[4:5], v4
	v_mul_f64 v[2:3], v[2:3], s[0:1]
	v_mul_f64 v[4:5], v[4:5], s[0:1]
	v_cvt_f32_f64_e32 v2, v[2:3]
	v_cvt_f32_f64_e32 v3, v[4:5]
	global_store_dwordx2 v[8:9], v[2:3], off
	global_load_dwordx2 v[8:9], v56, s[2:3] offset:480
	ds_read2_b64 v[2:5], v12 offset0:60 offset1:72
	s_waitcnt vmcnt(0) lgkmcnt(0)
	v_mul_f32_e32 v10, v3, v9
	v_mul_f32_e32 v9, v2, v9
	v_fmac_f32_e32 v10, v2, v8
	v_fma_f32 v8, v8, v3, -v9
	v_cvt_f64_f32_e32 v[2:3], v10
	v_cvt_f64_f32_e32 v[8:9], v8
	v_mul_f64 v[2:3], v[2:3], s[0:1]
	v_mul_f64 v[8:9], v[8:9], s[0:1]
	v_cvt_f32_f64_e32 v2, v[2:3]
	v_cvt_f32_f64_e32 v3, v[8:9]
	global_store_dwordx2 v[6:7], v[2:3], off
	global_load_dwordx2 v[2:3], v56, s[2:3] offset:576
	v_mad_u64_u32 v[6:7], s[8:9], s4, v13, v[6:7]
	v_add_u32_e32 v7, s6, v7
	s_waitcnt vmcnt(0)
	v_mul_f32_e32 v8, v5, v3
	v_mul_f32_e32 v3, v4, v3
	v_fmac_f32_e32 v8, v4, v2
	v_fma_f32 v4, v2, v5, -v3
	v_cvt_f64_f32_e32 v[2:3], v8
	v_cvt_f64_f32_e32 v[4:5], v4
	v_mul_f64 v[2:3], v[2:3], s[0:1]
	v_mul_f64 v[4:5], v[4:5], s[0:1]
	v_cvt_f32_f64_e32 v2, v[2:3]
	v_cvt_f32_f64_e32 v3, v[4:5]
	global_store_dwordx2 v[6:7], v[2:3], off
	global_load_dwordx2 v[8:9], v56, s[2:3] offset:672
	ds_read2_b64 v[2:5], v12 offset0:84 offset1:96
	v_mad_u64_u32 v[6:7], s[8:9], s4, v13, v[6:7]
	v_add_u32_e32 v7, s6, v7
	s_waitcnt vmcnt(0) lgkmcnt(0)
	v_mul_f32_e32 v10, v3, v9
	v_mul_f32_e32 v9, v2, v9
	v_fmac_f32_e32 v10, v2, v8
	v_fma_f32 v8, v8, v3, -v9
	v_cvt_f64_f32_e32 v[2:3], v10
	v_cvt_f64_f32_e32 v[8:9], v8
	v_mul_f64 v[2:3], v[2:3], s[0:1]
	v_mul_f64 v[8:9], v[8:9], s[0:1]
	v_cvt_f32_f64_e32 v2, v[2:3]
	v_cvt_f32_f64_e32 v3, v[8:9]
	global_store_dwordx2 v[6:7], v[2:3], off
	global_load_dwordx2 v[2:3], v56, s[2:3] offset:768
	v_mad_u64_u32 v[8:9], s[8:9], s4, v11, 0
	v_mov_b32_e32 v10, v9
	v_mad_u64_u32 v[10:11], s[8:9], s5, v11, v[10:11]
	v_mov_b32_e32 v9, v10
	v_lshl_add_u64 v[8:9], v[8:9], 3, v[0:1]
	v_mad_u64_u32 v[6:7], s[8:9], s4, v14, v[6:7]
	v_add_u32_e32 v7, s7, v7
	v_or_b32_e32 v11, 0x90, v248
	s_waitcnt vmcnt(0)
	v_mul_f32_e32 v10, v5, v3
	v_mul_f32_e32 v3, v4, v3
	v_fmac_f32_e32 v10, v4, v2
	v_fma_f32 v4, v2, v5, -v3
	v_cvt_f64_f32_e32 v[2:3], v10
	v_cvt_f64_f32_e32 v[4:5], v4
	v_mul_f64 v[2:3], v[2:3], s[0:1]
	v_mul_f64 v[4:5], v[4:5], s[0:1]
	v_cvt_f32_f64_e32 v2, v[2:3]
	v_cvt_f32_f64_e32 v3, v[4:5]
	global_store_dwordx2 v[8:9], v[2:3], off
	global_load_dwordx2 v[8:9], v56, s[2:3] offset:864
	ds_read2_b64 v[2:5], v12 offset0:108 offset1:120
	s_waitcnt vmcnt(0) lgkmcnt(0)
	v_mul_f32_e32 v10, v3, v9
	v_mul_f32_e32 v9, v2, v9
	v_fmac_f32_e32 v10, v2, v8
	v_fma_f32 v8, v8, v3, -v9
	v_cvt_f64_f32_e32 v[2:3], v10
	v_cvt_f64_f32_e32 v[8:9], v8
	v_mul_f64 v[2:3], v[2:3], s[0:1]
	v_mul_f64 v[8:9], v[8:9], s[0:1]
	v_cvt_f32_f64_e32 v2, v[2:3]
	v_cvt_f32_f64_e32 v3, v[8:9]
	global_store_dwordx2 v[6:7], v[2:3], off
	global_load_dwordx2 v[2:3], v56, s[2:3] offset:960
	v_mad_u64_u32 v[6:7], s[8:9], s4, v13, v[6:7]
	v_add_u32_e32 v7, s6, v7
	s_waitcnt vmcnt(0)
	v_mul_f32_e32 v8, v5, v3
	v_mul_f32_e32 v3, v4, v3
	v_fmac_f32_e32 v8, v4, v2
	v_fma_f32 v4, v2, v5, -v3
	v_cvt_f64_f32_e32 v[2:3], v8
	v_cvt_f64_f32_e32 v[4:5], v4
	v_mul_f64 v[2:3], v[2:3], s[0:1]
	v_mul_f64 v[4:5], v[4:5], s[0:1]
	v_cvt_f32_f64_e32 v2, v[2:3]
	v_cvt_f32_f64_e32 v3, v[4:5]
	global_store_dwordx2 v[6:7], v[2:3], off
	global_load_dwordx2 v[8:9], v56, s[2:3] offset:1056
	ds_read2_b64 v[2:5], v12 offset0:132 offset1:144
	v_mad_u64_u32 v[6:7], s[8:9], s4, v13, v[6:7]
	v_add_u32_e32 v7, s6, v7
	s_waitcnt vmcnt(0) lgkmcnt(0)
	v_mul_f32_e32 v10, v3, v9
	v_mul_f32_e32 v9, v2, v9
	v_fmac_f32_e32 v10, v2, v8
	v_fma_f32 v8, v8, v3, -v9
	v_cvt_f64_f32_e32 v[2:3], v10
	v_cvt_f64_f32_e32 v[8:9], v8
	v_mul_f64 v[2:3], v[2:3], s[0:1]
	v_mul_f64 v[8:9], v[8:9], s[0:1]
	v_cvt_f32_f64_e32 v2, v[2:3]
	v_cvt_f32_f64_e32 v3, v[8:9]
	global_store_dwordx2 v[6:7], v[2:3], off
	global_load_dwordx2 v[2:3], v56, s[2:3] offset:1152
	v_mad_u64_u32 v[8:9], s[8:9], s4, v11, 0
	v_mov_b32_e32 v10, v9
	v_mad_u64_u32 v[10:11], s[8:9], s5, v11, v[10:11]
	v_mov_b32_e32 v9, v10
	v_lshl_add_u64 v[8:9], v[8:9], 3, v[0:1]
	v_mad_u64_u32 v[6:7], s[8:9], s4, v14, v[6:7]
	v_add_u32_e32 v7, s7, v7
	s_waitcnt vmcnt(0)
	v_mul_f32_e32 v10, v5, v3
	v_mul_f32_e32 v3, v4, v3
	v_fmac_f32_e32 v10, v4, v2
	v_fma_f32 v4, v2, v5, -v3
	v_cvt_f64_f32_e32 v[2:3], v10
	v_cvt_f64_f32_e32 v[4:5], v4
	v_mul_f64 v[2:3], v[2:3], s[0:1]
	v_mul_f64 v[4:5], v[4:5], s[0:1]
	v_cvt_f32_f64_e32 v2, v[2:3]
	v_cvt_f32_f64_e32 v3, v[4:5]
	global_store_dwordx2 v[8:9], v[2:3], off
	global_load_dwordx2 v[8:9], v56, s[2:3] offset:1248
	ds_read2_b64 v[2:5], v12 offset0:156 offset1:168
	s_waitcnt vmcnt(0) lgkmcnt(0)
	v_mul_f32_e32 v10, v3, v9
	v_mul_f32_e32 v9, v2, v9
	v_fmac_f32_e32 v10, v2, v8
	v_fma_f32 v8, v8, v3, -v9
	v_cvt_f64_f32_e32 v[2:3], v10
	v_cvt_f64_f32_e32 v[8:9], v8
	v_mul_f64 v[2:3], v[2:3], s[0:1]
	v_mul_f64 v[8:9], v[8:9], s[0:1]
	v_cvt_f32_f64_e32 v2, v[2:3]
	v_cvt_f32_f64_e32 v3, v[8:9]
	global_store_dwordx2 v[6:7], v[2:3], off
	global_load_dwordx2 v[2:3], v56, s[2:3] offset:1344
	v_mad_u64_u32 v[6:7], s[8:9], s4, v13, v[6:7]
	v_add_u32_e32 v7, s6, v7
	s_waitcnt vmcnt(0)
	v_mul_f32_e32 v8, v5, v3
	v_mul_f32_e32 v3, v4, v3
	v_fmac_f32_e32 v8, v4, v2
	v_fma_f32 v4, v2, v5, -v3
	v_cvt_f64_f32_e32 v[2:3], v8
	v_cvt_f64_f32_e32 v[4:5], v4
	v_mul_f64 v[2:3], v[2:3], s[0:1]
	v_mul_f64 v[4:5], v[4:5], s[0:1]
	v_cvt_f32_f64_e32 v2, v[2:3]
	v_cvt_f32_f64_e32 v3, v[4:5]
	global_store_dwordx2 v[6:7], v[2:3], off
	global_load_dwordx2 v[8:9], v56, s[2:3] offset:1440
	ds_read2_b64 v[2:5], v12 offset0:180 offset1:192
	v_mad_u64_u32 v[6:7], s[8:9], s4, v13, v[6:7]
	v_add_u32_e32 v7, s6, v7
	s_waitcnt vmcnt(0) lgkmcnt(0)
	v_mul_f32_e32 v10, v3, v9
	v_mul_f32_e32 v9, v2, v9
	v_fmac_f32_e32 v10, v2, v8
	v_fma_f32 v8, v8, v3, -v9
	v_cvt_f64_f32_e32 v[2:3], v10
	v_cvt_f64_f32_e32 v[8:9], v8
	v_mul_f64 v[2:3], v[2:3], s[0:1]
	v_mul_f64 v[8:9], v[8:9], s[0:1]
	v_cvt_f32_f64_e32 v2, v[2:3]
	v_cvt_f32_f64_e32 v3, v[8:9]
	global_store_dwordx2 v[6:7], v[2:3], off
	global_load_dwordx2 v[2:3], v56, s[2:3] offset:1536
	v_or_b32_e32 v9, 0xc0, v248
	v_mad_u64_u32 v[6:7], s[2:3], s4, v9, 0
	v_mov_b32_e32 v8, v7
	v_mad_u64_u32 v[8:9], s[2:3], s5, v9, v[8:9]
	v_mov_b32_e32 v7, v8
	v_lshl_add_u64 v[0:1], v[6:7], 3, v[0:1]
	s_waitcnt vmcnt(0)
	v_mul_f32_e32 v8, v5, v3
	v_mul_f32_e32 v3, v4, v3
	v_fmac_f32_e32 v8, v4, v2
	v_fma_f32 v4, v2, v5, -v3
	v_cvt_f64_f32_e32 v[2:3], v8
	v_cvt_f64_f32_e32 v[4:5], v4
	v_mul_f64 v[2:3], v[2:3], s[0:1]
	v_mul_f64 v[4:5], v[4:5], s[0:1]
	v_cvt_f32_f64_e32 v2, v[2:3]
	v_cvt_f32_f64_e32 v3, v[4:5]
	global_store_dwordx2 v[0:1], v[2:3], off
.LBB0_15:
	s_endpgm
	.section	.rodata,"a",@progbits
	.p2align	6, 0x0
	.amdhsa_kernel bluestein_single_back_len204_dim1_sp_op_CI_CI
		.amdhsa_group_segment_fixed_size 11424
		.amdhsa_private_segment_fixed_size 0
		.amdhsa_kernarg_size 104
		.amdhsa_user_sgpr_count 2
		.amdhsa_user_sgpr_dispatch_ptr 0
		.amdhsa_user_sgpr_queue_ptr 0
		.amdhsa_user_sgpr_kernarg_segment_ptr 1
		.amdhsa_user_sgpr_dispatch_id 0
		.amdhsa_user_sgpr_kernarg_preload_length 0
		.amdhsa_user_sgpr_kernarg_preload_offset 0
		.amdhsa_user_sgpr_private_segment_size 0
		.amdhsa_uses_dynamic_stack 0
		.amdhsa_enable_private_segment 0
		.amdhsa_system_sgpr_workgroup_id_x 1
		.amdhsa_system_sgpr_workgroup_id_y 0
		.amdhsa_system_sgpr_workgroup_id_z 0
		.amdhsa_system_sgpr_workgroup_info 0
		.amdhsa_system_vgpr_workitem_id 0
		.amdhsa_next_free_vgpr 298
		.amdhsa_next_free_sgpr 62
		.amdhsa_accum_offset 256
		.amdhsa_reserve_vcc 1
		.amdhsa_float_round_mode_32 0
		.amdhsa_float_round_mode_16_64 0
		.amdhsa_float_denorm_mode_32 3
		.amdhsa_float_denorm_mode_16_64 3
		.amdhsa_dx10_clamp 1
		.amdhsa_ieee_mode 1
		.amdhsa_fp16_overflow 0
		.amdhsa_tg_split 0
		.amdhsa_exception_fp_ieee_invalid_op 0
		.amdhsa_exception_fp_denorm_src 0
		.amdhsa_exception_fp_ieee_div_zero 0
		.amdhsa_exception_fp_ieee_overflow 0
		.amdhsa_exception_fp_ieee_underflow 0
		.amdhsa_exception_fp_ieee_inexact 0
		.amdhsa_exception_int_div_zero 0
	.end_amdhsa_kernel
	.text
.Lfunc_end0:
	.size	bluestein_single_back_len204_dim1_sp_op_CI_CI, .Lfunc_end0-bluestein_single_back_len204_dim1_sp_op_CI_CI
                                        ; -- End function
	.section	.AMDGPU.csdata,"",@progbits
; Kernel info:
; codeLenInByte = 15784
; NumSgprs: 68
; NumVgprs: 256
; NumAgprs: 42
; TotalNumVgprs: 298
; ScratchSize: 0
; MemoryBound: 0
; FloatMode: 240
; IeeeMode: 1
; LDSByteSize: 11424 bytes/workgroup (compile time only)
; SGPRBlocks: 8
; VGPRBlocks: 37
; NumSGPRsForWavesPerEU: 68
; NumVGPRsForWavesPerEU: 298
; AccumOffset: 256
; Occupancy: 1
; WaveLimiterHint : 1
; COMPUTE_PGM_RSRC2:SCRATCH_EN: 0
; COMPUTE_PGM_RSRC2:USER_SGPR: 2
; COMPUTE_PGM_RSRC2:TRAP_HANDLER: 0
; COMPUTE_PGM_RSRC2:TGID_X_EN: 1
; COMPUTE_PGM_RSRC2:TGID_Y_EN: 0
; COMPUTE_PGM_RSRC2:TGID_Z_EN: 0
; COMPUTE_PGM_RSRC2:TIDIG_COMP_CNT: 0
; COMPUTE_PGM_RSRC3_GFX90A:ACCUM_OFFSET: 63
; COMPUTE_PGM_RSRC3_GFX90A:TG_SPLIT: 0
	.text
	.p2alignl 6, 3212836864
	.fill 256, 4, 3212836864
	.type	__hip_cuid_f49f1a8a351f9210,@object ; @__hip_cuid_f49f1a8a351f9210
	.section	.bss,"aw",@nobits
	.globl	__hip_cuid_f49f1a8a351f9210
__hip_cuid_f49f1a8a351f9210:
	.byte	0                               ; 0x0
	.size	__hip_cuid_f49f1a8a351f9210, 1

	.ident	"AMD clang version 19.0.0git (https://github.com/RadeonOpenCompute/llvm-project roc-6.4.0 25133 c7fe45cf4b819c5991fe208aaa96edf142730f1d)"
	.section	".note.GNU-stack","",@progbits
	.addrsig
	.addrsig_sym __hip_cuid_f49f1a8a351f9210
	.amdgpu_metadata
---
amdhsa.kernels:
  - .agpr_count:     42
    .args:
      - .actual_access:  read_only
        .address_space:  global
        .offset:         0
        .size:           8
        .value_kind:     global_buffer
      - .actual_access:  read_only
        .address_space:  global
        .offset:         8
        .size:           8
        .value_kind:     global_buffer
      - .actual_access:  read_only
        .address_space:  global
        .offset:         16
        .size:           8
        .value_kind:     global_buffer
      - .actual_access:  read_only
        .address_space:  global
        .offset:         24
        .size:           8
        .value_kind:     global_buffer
      - .actual_access:  read_only
        .address_space:  global
        .offset:         32
        .size:           8
        .value_kind:     global_buffer
      - .offset:         40
        .size:           8
        .value_kind:     by_value
      - .address_space:  global
        .offset:         48
        .size:           8
        .value_kind:     global_buffer
      - .address_space:  global
        .offset:         56
        .size:           8
        .value_kind:     global_buffer
      - .address_space:  global
        .offset:         64
        .size:           8
        .value_kind:     global_buffer
      - .address_space:  global
        .offset:         72
        .size:           8
        .value_kind:     global_buffer
      - .offset:         80
        .size:           4
        .value_kind:     by_value
      - .address_space:  global
        .offset:         88
        .size:           8
        .value_kind:     global_buffer
      - .address_space:  global
        .offset:         96
        .size:           8
        .value_kind:     global_buffer
    .group_segment_fixed_size: 11424
    .kernarg_segment_align: 8
    .kernarg_segment_size: 104
    .language:       OpenCL C
    .language_version:
      - 2
      - 0
    .max_flat_workgroup_size: 119
    .name:           bluestein_single_back_len204_dim1_sp_op_CI_CI
    .private_segment_fixed_size: 0
    .sgpr_count:     68
    .sgpr_spill_count: 0
    .symbol:         bluestein_single_back_len204_dim1_sp_op_CI_CI.kd
    .uniform_work_group_size: 1
    .uses_dynamic_stack: false
    .vgpr_count:     298
    .vgpr_spill_count: 0
    .wavefront_size: 64
amdhsa.target:   amdgcn-amd-amdhsa--gfx950
amdhsa.version:
  - 1
  - 2
...

	.end_amdgpu_metadata
